;; amdgpu-corpus repo=ROCm/aiter kind=harvested arch=n/a opt=n/a

/root/src/amdgpu-assembly/repos/ROCm__aiter/hsa/gfx950/fmoe_2stages/fmoe_stage1_bf16_pertokenFp8_g1u1_128x128_pf2.co:	file format elf64-amdgpu

Disassembly of section .text:

0000000000002a00 <_ZN5aiter45fmoe_stage1_bf16_pertokenFp8_g1u1_128x128_pf2E>:
	s_and_b32 s1, s1, 0xffff                                   // 000000002A00: 8601FF01 0000FFFF
	s_load_dwordx2 s[8:9], s[0:1], 0x0                         // 000000002A08: C0060200 00000000
	s_load_dwordx2 s[20:21], s[0:1], 0x10                      // 000000002A10: C0060500 00000010
	s_load_dwordx2 s[24:25], s[0:1], 0x20                      // 000000002A18: C0060600 00000020
	s_load_dwordx2 s[48:49], s[0:1], 0x30                      // 000000002A20: C0060C00 00000030
	s_load_dwordx2 s[28:29], s[0:1], 0x40                      // 000000002A28: C0060700 00000040
	s_load_dwordx2 s[32:33], s[0:1], 0x50                      // 000000002A30: C0060800 00000050
	s_load_dwordx2 s[36:37], s[0:1], 0x60                      // 000000002A38: C0060900 00000060
	s_load_dwordx2 s[12:13], s[0:1], 0x70                      // 000000002A40: C0060300 00000070
	s_load_dwordx2 s[44:45], s[0:1], 0x80                      // 000000002A48: C0060B00 00000080
	s_mov_b32 s89, 0                                           // 000000002A50: BED90080
	s_load_dword s64, s[0:1], 0x90                             // 000000002A54: C0021000 00000090
	s_load_dword s65, s[0:1], 0xa0                             // 000000002A5C: C0021040 000000A0
	s_load_dword s66, s[0:1], 0xb0                             // 000000002A64: C0021080 000000B0
	s_load_dword s67, s[0:1], 0xc0                             // 000000002A6C: C00210C0 000000C0
	s_load_dword s68, s[0:1], 0xd0                             // 000000002A74: C0021100 000000D0
	s_load_dword s69, s[0:1], 0xe0                             // 000000002A7C: C0021140 000000E0
	s_load_dword s71, s[0:1], 0xf0                             // 000000002A84: C00211C0 000000F0
	s_load_dword s72, s[0:1], 0x100                            // 000000002A8C: C0021200 00000100
	s_load_dword s74, s[0:1], 0x110                            // 000000002A94: C0021280 00000110
	s_load_dword s76, s[0:1], 0x120                            // 000000002A9C: C0021300 00000120
	s_load_dword s56, s[0:1], 0x130                            // 000000002AA4: C0020E00 00000130
	s_load_dword s88, s[0:1], 0x140                            // 000000002AAC: C0021600 00000140
	s_load_dword s89, s[0:1], 0x150                            // 000000002AB4: C0021640 00000150
	v_lshrrev_b32_e32 v1, 10, v0                               // 000000002ABC: 2002008A
	v_lshrrev_b32_e32 v2, 10, v1                               // 000000002AC0: 2004028A
	v_and_b32_e32 v2, 0x3ff, v2                                // 000000002AC4: 260404FF 000003FF
	v_and_b32_e32 v1, 0x3ff, v1                                // 000000002ACC: 260202FF 000003FF
	v_and_b32_e32 v0, 0x3ff, v0                                // 000000002AD4: 260000FF 000003FF
	v_lshrrev_b32_e32 v3, 6, v0                                // 000000002ADC: 20060086
	v_and_b32_e32 v0, 63, v0                                   // 000000002AE0: 260000BF
	s_mov_b32 s2, s2                                           // 000000002AE4: BE820002
	s_mov_b32 s3, s3                                           // 000000002AE8: BE830003
	s_mov_b32 s4, s4                                           // 000000002AEC: BE840004
	v_readfirstlane_b32 s7, v3                                 // 000000002AF0: 7E0E0503
	s_waitcnt lgkmcnt(0)                                       // 000000002AF4: BF8CC07F
	s_and_b32 s49, s49, 0xffff                                 // 000000002AF8: 8631FF31 0000FFFF
	s_load_dword s48, s[48:49], 0x0                            // 000000002B00: C0020C18 00000000
	s_and_b32 s45, s45, 0xffff                                 // 000000002B08: 862DFF2D 0000FFFF
	s_and_b32 s9, s9, 0xffff                                   // 000000002B10: 8609FF09 0000FFFF
	s_mul_i32 s60, s66, s68                                    // 000000002B18: 923C4442
	s_mul_i32 s61, s66, 4                                      // 000000002B1C: 923D8442
	s_mov_b32 s22, s60                                         // 000000002B20: BE96003C
	s_mov_b32 s26, -16                                         // 000000002B24: BE9A00D0
	s_mov_b32 s30, s61                                         // 000000002B28: BE9E003D
	s_mov_b32 s14, 0x200                                       // 000000002B2C: BE8E00FF 00000200
	s_mov_b32 s38, -16                                         // 000000002B34: BEA600D0
	s_mov_b32 s10, -16                                         // 000000002B38: BE8A00D0
	s_mov_b32 s34, 0x200                                       // 000000002B3C: BEA200FF 00000200
	s_mov_b32 s23, 0x20000                                     // 000000002B44: BE9700FF 00020000
	s_mov_b32 s27, 0x20000                                     // 000000002B4C: BE9B00FF 00020000
	s_mov_b32 s31, 0x20000                                     // 000000002B54: BE9F00FF 00020000
	s_mov_b32 s35, 0x20000                                     // 000000002B5C: BEA300FF 00020000
	s_mov_b32 s15, 0x20000                                     // 000000002B64: BE8F00FF 00020000
	s_mov_b32 s39, 0x20000                                     // 000000002B6C: BEA700FF 00020000
	s_mov_b32 s11, 0x20000                                     // 000000002B74: BE8B00FF 00020000
	s_and_b32 s21, s21, 0xffff                                 // 000000002B7C: 8615FF15 0000FFFF
	s_and_b32 s25, s25, 0xffff                                 // 000000002B84: 8619FF19 0000FFFF
	s_and_b32 s29, s29, 0xffff                                 // 000000002B8C: 861DFF1D 0000FFFF
	s_and_b32 s33, s33, 0xffff                                 // 000000002B94: 8621FF21 0000FFFF
	s_and_b32 s13, s13, 0xffff                                 // 000000002B9C: 860DFF0D 0000FFFF
	s_and_b32 s37, s37, 0xffff                                 // 000000002BA4: 8625FF25 0000FFFF
	s_or_b32 s21, s21, 0x40000                                 // 000000002BAC: 8715FF15 00040000
	s_or_b32 s25, s25, 0x40000                                 // 000000002BB4: 8719FF19 00040000
	s_or_b32 s29, s29, 0x40000                                 // 000000002BBC: 871DFF1D 00040000
	s_or_b32 s33, s33, 0x40000                                 // 000000002BC4: 8721FF21 00040000
	s_or_b32 s13, s13, 0x40000                                 // 000000002BCC: 870DFF0D 00040000
	s_or_b32 s37, s37, 0x40000                                 // 000000002BD4: 8725FF25 00040000
	v_accvgpr_write_b32 a159, 0                                // 000000002BDC: D3D9409F 18000080
	v_mov_b32_e32 v207, 0                                      // 000000002BE4: 7F9E0280
	s_waitcnt lgkmcnt(0)                                       // 000000002BE8: BF8CC07F
	s_mul_i32 s60, s3, 0x80                                    // 000000002BEC: 923CFF03 00000080
	s_cmp_lt_i32 s60, s48                                      // 000000002BF4: BF04303C
	s_cbranch_scc0 label_2FAE                                  // 000000002BF8: BF842F2C
	s_mov_b32 s80, 0                                           // 000000002BFC: BED00080
	s_lshr_b32 s81, s64, s88                                   // 000000002C00: 8F515840
	s_mul_i32 s60, s3, 4                                       // 000000002C04: 923C8403
	s_add_u32 s44, s60, s44                                    // 000000002C08: 802C2C3C
	s_addc_u32 s45, 0, s45                                     // 000000002C0C: 822D2D80
	s_load_dword s5, s[44:45], 0x0                             // 000000002C10: C0020156 00000000
	s_mul_i32 s60, s3, 0x80                                    // 000000002C18: 923CFF03 00000080
	s_mul_i32 s60, 4, s60                                      // 000000002C20: 923C3C84
	s_add_u32 s12, s60, s12                                    // 000000002C24: 800C0C3C
	s_addc_u32 s13, 0, s13                                     // 000000002C28: 820D0D80
	v_and_b32_e32 v4, 15, v0                                   // 000000002C2C: 2608008F
	v_lshlrev_b32_e32 v4, 2, v4                                // 000000002C30: 24080882
	buffer_load_dword v28, v4, s[12:15], 0 offen               // 000000002C34: E0501000 80031C04
	v_add_u32_e32 v4, 64, v4                                   // 000000002C3C: 680808C0
	buffer_load_dword v29, v4, s[12:15], 0 offen               // 000000002C40: E0501000 80031D04
	v_add_u32_e32 v4, 64, v4                                   // 000000002C48: 680808C0
	buffer_load_dword v30, v4, s[12:15], 0 offen               // 000000002C4C: E0501000 80031E04
	v_add_u32_e32 v4, 64, v4                                   // 000000002C54: 680808C0
	buffer_load_dword v31, v4, s[12:15], 0 offen               // 000000002C58: E0501000 80031F04
	v_add_u32_e32 v4, 64, v4                                   // 000000002C60: 680808C0
	buffer_load_dword v32, v4, s[12:15], 0 offen               // 000000002C64: E0501000 80032004
	v_add_u32_e32 v4, 64, v4                                   // 000000002C6C: 680808C0
	buffer_load_dword v33, v4, s[12:15], 0 offen               // 000000002C70: E0501000 80032104
	v_add_u32_e32 v4, 64, v4                                   // 000000002C78: 680808C0
	buffer_load_dword v34, v4, s[12:15], 0 offen               // 000000002C7C: E0501000 80032204
	v_add_u32_e32 v4, 64, v4                                   // 000000002C84: 680808C0
	buffer_load_dword v35, v4, s[12:15], 0 offen               // 000000002C88: E0501000 80032304
	v_add_u32_e32 v4, 64, v4                                   // 000000002C90: 680808C0
	s_mul_i32 s60, 4, s7                                       // 000000002C94: 923C0784
	v_lshlrev_b32_e32 v4, 4, v0                                // 000000002C98: 24080084
	v_add_u32_e32 v4, s60, v4                                  // 000000002C9C: 6808083C
	buffer_load_dword v3, v4, s[12:15], 0 offen                // 000000002CA0: E0501000 80030304
	v_mov_b32_e32 v80, 0                                       // 000000002CA8: 7EA00280
	v_mov_b32_e32 v144, 0                                      // 000000002CAC: 7F200280
	v_mov_b32_e32 v81, 0                                       // 000000002CB0: 7EA20280
	v_mov_b32_e32 v145, 0                                      // 000000002CB4: 7F220280
	v_mov_b32_e32 v82, 0                                       // 000000002CB8: 7EA40280
	v_mov_b32_e32 v146, 0                                      // 000000002CBC: 7F240280
	v_mov_b32_e32 v83, 0                                       // 000000002CC0: 7EA60280
	v_mov_b32_e32 v147, 0                                      // 000000002CC4: 7F260280
	v_mov_b32_e32 v84, 0                                       // 000000002CC8: 7EA80280
	v_mov_b32_e32 v148, 0                                      // 000000002CCC: 7F280280
	v_mov_b32_e32 v85, 0                                       // 000000002CD0: 7EAA0280
	v_mov_b32_e32 v149, 0                                      // 000000002CD4: 7F2A0280
	v_mov_b32_e32 v86, 0                                       // 000000002CD8: 7EAC0280
	v_mov_b32_e32 v150, 0                                      // 000000002CDC: 7F2C0280
	v_mov_b32_e32 v87, 0                                       // 000000002CE0: 7EAE0280
	v_mov_b32_e32 v151, 0                                      // 000000002CE4: 7F2E0280
	v_mov_b32_e32 v88, 0                                       // 000000002CE8: 7EB00280
	v_mov_b32_e32 v152, 0                                      // 000000002CEC: 7F300280
	v_mov_b32_e32 v89, 0                                       // 000000002CF0: 7EB20280
	v_mov_b32_e32 v153, 0                                      // 000000002CF4: 7F320280
	v_mov_b32_e32 v90, 0                                       // 000000002CF8: 7EB40280
	v_mov_b32_e32 v154, 0                                      // 000000002CFC: 7F340280
	v_mov_b32_e32 v91, 0                                       // 000000002D00: 7EB60280
	v_mov_b32_e32 v155, 0                                      // 000000002D04: 7F360280
	v_mov_b32_e32 v92, 0                                       // 000000002D08: 7EB80280
	v_mov_b32_e32 v156, 0                                      // 000000002D0C: 7F380280
	v_mov_b32_e32 v93, 0                                       // 000000002D10: 7EBA0280
	v_mov_b32_e32 v157, 0                                      // 000000002D14: 7F3A0280
	v_mov_b32_e32 v94, 0                                       // 000000002D18: 7EBC0280
	v_mov_b32_e32 v158, 0                                      // 000000002D1C: 7F3C0280
	v_mov_b32_e32 v95, 0                                       // 000000002D20: 7EBE0280
	v_mov_b32_e32 v159, 0                                      // 000000002D24: 7F3E0280
	v_mov_b32_e32 v96, 0                                       // 000000002D28: 7EC00280
	v_mov_b32_e32 v160, 0                                      // 000000002D2C: 7F400280
	v_mov_b32_e32 v97, 0                                       // 000000002D30: 7EC20280
	v_mov_b32_e32 v161, 0                                      // 000000002D34: 7F420280
	v_mov_b32_e32 v98, 0                                       // 000000002D38: 7EC40280
	v_mov_b32_e32 v162, 0                                      // 000000002D3C: 7F440280
	v_mov_b32_e32 v99, 0                                       // 000000002D40: 7EC60280
	v_mov_b32_e32 v163, 0                                      // 000000002D44: 7F460280
	v_mov_b32_e32 v100, 0                                      // 000000002D48: 7EC80280
	v_mov_b32_e32 v164, 0                                      // 000000002D4C: 7F480280
	v_mov_b32_e32 v101, 0                                      // 000000002D50: 7ECA0280
	v_mov_b32_e32 v165, 0                                      // 000000002D54: 7F4A0280
	v_mov_b32_e32 v102, 0                                      // 000000002D58: 7ECC0280
	v_mov_b32_e32 v166, 0                                      // 000000002D5C: 7F4C0280
	v_mov_b32_e32 v103, 0                                      // 000000002D60: 7ECE0280
	v_mov_b32_e32 v167, 0                                      // 000000002D64: 7F4E0280
	v_mov_b32_e32 v104, 0                                      // 000000002D68: 7ED00280
	v_mov_b32_e32 v168, 0                                      // 000000002D6C: 7F500280
	v_mov_b32_e32 v105, 0                                      // 000000002D70: 7ED20280
	v_mov_b32_e32 v169, 0                                      // 000000002D74: 7F520280
	v_mov_b32_e32 v106, 0                                      // 000000002D78: 7ED40280
	v_mov_b32_e32 v170, 0                                      // 000000002D7C: 7F540280
	v_mov_b32_e32 v107, 0                                      // 000000002D80: 7ED60280
	v_mov_b32_e32 v171, 0                                      // 000000002D84: 7F560280
	v_mov_b32_e32 v108, 0                                      // 000000002D88: 7ED80280
	v_mov_b32_e32 v172, 0                                      // 000000002D8C: 7F580280
	v_mov_b32_e32 v109, 0                                      // 000000002D90: 7EDA0280
	v_mov_b32_e32 v173, 0                                      // 000000002D94: 7F5A0280
	v_mov_b32_e32 v110, 0                                      // 000000002D98: 7EDC0280
	v_mov_b32_e32 v174, 0                                      // 000000002D9C: 7F5C0280
	v_mov_b32_e32 v111, 0                                      // 000000002DA0: 7EDE0280
	v_mov_b32_e32 v175, 0                                      // 000000002DA4: 7F5E0280
	v_mov_b32_e32 v112, 0                                      // 000000002DA8: 7EE00280
	v_mov_b32_e32 v176, 0                                      // 000000002DAC: 7F600280
	v_mov_b32_e32 v113, 0                                      // 000000002DB0: 7EE20280
	v_mov_b32_e32 v177, 0                                      // 000000002DB4: 7F620280
	v_mov_b32_e32 v114, 0                                      // 000000002DB8: 7EE40280
	v_mov_b32_e32 v178, 0                                      // 000000002DBC: 7F640280
	v_mov_b32_e32 v115, 0                                      // 000000002DC0: 7EE60280
	v_mov_b32_e32 v179, 0                                      // 000000002DC4: 7F660280
	v_mov_b32_e32 v116, 0                                      // 000000002DC8: 7EE80280
	v_mov_b32_e32 v180, 0                                      // 000000002DCC: 7F680280
	v_mov_b32_e32 v117, 0                                      // 000000002DD0: 7EEA0280
	v_mov_b32_e32 v181, 0                                      // 000000002DD4: 7F6A0280
	v_mov_b32_e32 v118, 0                                      // 000000002DD8: 7EEC0280
	v_mov_b32_e32 v182, 0                                      // 000000002DDC: 7F6C0280
	v_mov_b32_e32 v119, 0                                      // 000000002DE0: 7EEE0280
	v_mov_b32_e32 v183, 0                                      // 000000002DE4: 7F6E0280
	v_mov_b32_e32 v120, 0                                      // 000000002DE8: 7EF00280
	v_mov_b32_e32 v184, 0                                      // 000000002DEC: 7F700280
	v_mov_b32_e32 v121, 0                                      // 000000002DF0: 7EF20280
	v_mov_b32_e32 v185, 0                                      // 000000002DF4: 7F720280
	v_mov_b32_e32 v122, 0                                      // 000000002DF8: 7EF40280
	v_mov_b32_e32 v186, 0                                      // 000000002DFC: 7F740280
	v_mov_b32_e32 v123, 0                                      // 000000002E00: 7EF60280
	v_mov_b32_e32 v187, 0                                      // 000000002E04: 7F760280
	v_mov_b32_e32 v124, 0                                      // 000000002E08: 7EF80280
	v_mov_b32_e32 v188, 0                                      // 000000002E0C: 7F780280
	v_mov_b32_e32 v125, 0                                      // 000000002E10: 7EFA0280
	v_mov_b32_e32 v189, 0                                      // 000000002E14: 7F7A0280
	v_mov_b32_e32 v126, 0                                      // 000000002E18: 7EFC0280
	v_mov_b32_e32 v190, 0                                      // 000000002E1C: 7F7C0280
	v_mov_b32_e32 v127, 0                                      // 000000002E20: 7EFE0280
	v_mov_b32_e32 v191, 0                                      // 000000002E24: 7F7E0280
	v_mov_b32_e32 v128, 0                                      // 000000002E28: 7F000280
	v_mov_b32_e32 v192, 0                                      // 000000002E2C: 7F800280
	v_mov_b32_e32 v129, 0                                      // 000000002E30: 7F020280
	v_mov_b32_e32 v193, 0                                      // 000000002E34: 7F820280
	v_mov_b32_e32 v130, 0                                      // 000000002E38: 7F040280
	v_mov_b32_e32 v194, 0                                      // 000000002E3C: 7F840280
	v_mov_b32_e32 v131, 0                                      // 000000002E40: 7F060280
	v_mov_b32_e32 v195, 0                                      // 000000002E44: 7F860280
	v_mov_b32_e32 v132, 0                                      // 000000002E48: 7F080280
	v_mov_b32_e32 v196, 0                                      // 000000002E4C: 7F880280
	v_mov_b32_e32 v133, 0                                      // 000000002E50: 7F0A0280
	v_mov_b32_e32 v197, 0                                      // 000000002E54: 7F8A0280
	v_mov_b32_e32 v134, 0                                      // 000000002E58: 7F0C0280
	v_mov_b32_e32 v198, 0                                      // 000000002E5C: 7F8C0280
	v_mov_b32_e32 v135, 0                                      // 000000002E60: 7F0E0280
	v_mov_b32_e32 v199, 0                                      // 000000002E64: 7F8E0280
	v_mov_b32_e32 v136, 0                                      // 000000002E68: 7F100280
	v_mov_b32_e32 v200, 0                                      // 000000002E6C: 7F900280
	v_mov_b32_e32 v137, 0                                      // 000000002E70: 7F120280
	v_mov_b32_e32 v201, 0                                      // 000000002E74: 7F920280
	v_mov_b32_e32 v138, 0                                      // 000000002E78: 7F140280
	v_mov_b32_e32 v202, 0                                      // 000000002E7C: 7F940280
	v_mov_b32_e32 v139, 0                                      // 000000002E80: 7F160280
	v_mov_b32_e32 v203, 0                                      // 000000002E84: 7F960280
	v_mov_b32_e32 v140, 0                                      // 000000002E88: 7F180280
	v_mov_b32_e32 v204, 0                                      // 000000002E8C: 7F980280
	v_mov_b32_e32 v141, 0                                      // 000000002E90: 7F1A0280
	v_mov_b32_e32 v205, 0                                      // 000000002E94: 7F9A0280
	v_mov_b32_e32 v142, 0                                      // 000000002E98: 7F1C0280
	v_mov_b32_e32 v206, 0                                      // 000000002E9C: 7F9C0280
	v_mov_b32_e32 v143, 0                                      // 000000002EA0: 7F1E0280
	v_mov_b32_e32 v207, 0                                      // 000000002EA4: 7F9E0280
	s_mul_i32 s60, s2, 0x100                                   // 000000002EA8: 923CFF02 00000100
	s_cmp_eq_u32 s88, 0                                        // 000000002EB0: BF068058
	s_cselect_b32 s61, 1, 2                                    // 000000002EB4: 853D8281
	s_mul_i32 s60, s60, s61                                    // 000000002EB8: 923C3D3C
	s_mov_b32 s90, s8                                          // 000000002EBC: BEDA0008
	s_mov_b32 s91, s9                                          // 000000002EC0: BEDB0009
	s_add_u32 s8, s60, s8                                      // 000000002EC4: 8008083C
	s_addc_u32 s9, 0, s9                                       // 000000002EC8: 82090980
	v_lshrrev_b32_e32 v4, 4, v0                                // 000000002ECC: 20080084
	v_mul_lo_u32 v20, 34, v4                                   // 000000002ED0: D2850014 000208A2
	v_and_b32_e32 v4, 15, v0                                   // 000000002ED8: 2608008F
	v_mul_lo_u32 v5, 2, v4                                     // 000000002EDC: D2850005 00020882
	v_add_u32_e32 v20, v5, v20                                 // 000000002EE4: 68282905
	s_mul_i32 s60, s7, 0x88                                    // 000000002EE8: 923CFF07 00000088
	v_add_u32_e32 v20, s60, v20                                // 000000002EF0: 6828283C
	v_lshlrev_b32_e32 v20, 2, v20                              // 000000002EF4: 24282882
	v_and_b32_e32 v4, 31, v0                                   // 000000002EF8: 2608009F
	v_lshrrev_b32_e32 v4, 1, v4                                // 000000002EFC: 20080881
	v_mul_lo_u32 v21, 34, v4                                   // 000000002F00: D2850015 000208A2
	v_lshrrev_b32_e32 v4, 5, v0                                // 000000002F08: 20080085
	v_mul_lo_u32 v4, 8, v4                                     // 000000002F0C: D2850004 00020888
	v_add_u32_e32 v21, v21, v4                                 // 000000002F14: 682A0915
	v_and_b32_e32 v5, 1, v0                                    // 000000002F18: 260A0081
	v_add_u32_e32 v21, v5, v21                                 // 000000002F1C: 682A2B05
	s_mul_i32 s60, s7, 2                                       // 000000002F20: 923C8207
	v_add_u32_e32 v21, s60, v21                                // 000000002F24: 682A2A3C
	v_lshlrev_b32_e32 v21, 2, v21                              // 000000002F28: 242A2A82
	s_mul_i32 s60, s7, 0x1020                                  // 000000002F2C: 923CFF07 00001020
	s_add_u32 s48, 0, s60                                      // 000000002F34: 80303C80
	s_add_u32 s49, 0x4080, s48                                 // 000000002F38: 803130FF 00004080
	v_lshrrev_b32_e32 v4, 4, v0                                // 000000002F40: 20080084
	v_lshlrev_b32_e32 v5, 2, v4                                // 000000002F44: 240A0882
	v_and_b32_e32 v4, 15, v0                                   // 000000002F48: 2608008F
	v_lshrrev_b32_e32 v6, 2, v4                                // 000000002F4C: 200C0882
	v_lshlrev_b32_e32 v6, 5, v6                                // 000000002F50: 240C0C85
	v_add_u32_e32 v5, v6, v5                                   // 000000002F54: 680A0B06
	v_and_b32_e32 v4, 3, v0                                    // 000000002F58: 26080083
	v_mul_u32_u24_e32 v6, 0x408, v4                            // 000000002F5C: 100C08FF 00000408
	v_add_u32_e32 v5, v6, v5                                   // 000000002F64: 680A0B06
	v_lshlrev_b32_e32 v2, 2, v5                                // 000000002F68: 24040A82
	s_waitcnt lgkmcnt(0)                                       // 000000002F6C: BF8CC07F
	s_mul_i32 s60, s2, 0x80                                    // 000000002F70: 923CFF02 00000080
	s_mul_i32 s60, s60, s69                                    // 000000002F78: 923C453C
	s_mul_i32 s61, s5, s72                                     // 000000002F7C: 923D4805
	s_add_u32 s60, s61, s60                                    // 000000002F80: 803C3C3D
	s_add_u32 s24, s60, s24                                    // 000000002F84: 8018183C
	s_addc_u32 s25, 0, s25                                     // 000000002F88: 82191980
	s_lshr_b32 s60, s64, s88                                   // 000000002F8C: 8F3C5840
	s_mul_i32 s60, s4, s60                                     // 000000002F90: 923C3C04
	s_lshr_b32 s60, s60, 7                                     // 000000002F94: 8F3C873C
	s_mul_i32 s60, s60, 0x800                                  // 000000002F98: 923CFF3C 00000800
	s_add_u32 s24, s60, s24                                    // 000000002FA0: 8018183C
	s_addc_u32 s25, 0, s25                                     // 000000002FA4: 82191980
	s_lshr_b32 s60, s69, s88                                   // 000000002FA8: 8F3C5845
	s_mul_i32 s60, s4, s60                                     // 000000002FAC: 923C3C04
	s_add_u32 s20, s60, s20                                    // 000000002FB0: 8014143C
	s_addc_u32 s21, 0, s21                                     // 000000002FB4: 82151580
	s_mul_i32 s60, s7, 16                                      // 000000002FB8: 923C9007
	s_mul_i32 s60, s60, s69                                    // 000000002FBC: 923C453C
	v_lshlrev_b32_e32 v76, 4, v0                               // 000000002FC0: 24980084
	v_add_u32_e32 v76, s60, v76                                // 000000002FC4: 6898983C
	s_mul_i32 s60, 64, s69                                     // 000000002FC8: 923C45C0
	v_add_u32_e32 v77, s60, v76                                // 000000002FCC: 689A983C
	s_mov_b32 s84, s24                                         // 000000002FD0: BED40018
	s_mov_b32 s85, s25                                         // 000000002FD4: BED50019
	s_mov_b32 s86, s26                                         // 000000002FD8: BED6001A
	s_mov_b32 s87, s27                                         // 000000002FDC: BED7001B
	s_mul_i32 s60, s69, s65                                    // 000000002FE0: 923C4145
	s_add_u32 s84, s60, s84                                    // 000000002FE4: 8054543C
	s_addc_u32 s85, 0, s85                                     // 000000002FE8: 82555580
	v_lshrrev_b32_e32 v4, 4, v0                                // 000000002FEC: 20080084
	v_lshlrev_b32_e32 v5, 2, v4                                // 000000002FF0: 240A0882
	v_and_b32_e32 v4, 15, v0                                   // 000000002FF4: 2608008F
	v_lshrrev_b32_e32 v6, 2, v4                                // 000000002FF8: 200C0882
	v_lshlrev_b32_e32 v6, 6, v6                                // 000000002FFC: 240C0C86
	v_add_u32_e32 v5, v6, v5                                   // 000000003000: 680A0B06
	v_and_b32_e32 v4, 3, v0                                    // 000000003004: 26080083
	v_add_u32_e32 v5, v4, v5                                   // 000000003008: 680A0B04
	v_lshlrev_b32_e32 v22, 2, v5                               // 00000000300C: 242C0A82
	s_mul_i32 s60, s7, 16                                      // 000000003010: 923C9007
	s_mul_i32 s60, s60, 4                                      // 000000003014: 923C843C
	v_add_u32_e32 v22, s60, v22                                // 000000003018: 682C2C3C
	s_mul_i32 s60, s2, 0x80                                    // 00000000301C: 923CFF02 00000080
	s_mul_i32 s60, s60, 4                                      // 000000003024: 923C843C
	s_mul_i32 s61, s5, s74                                     // 000000003028: 923D4A05
	s_add_u32 s61, s61, s60                                    // 00000000302C: 803D3C3D
	s_add_u32 s32, s61, s32                                    // 000000003030: 8020203D
	s_addc_u32 s33, 0, s33                                     // 000000003034: 82212180
	s_mov_b32 s57, 0x80                                        // 000000003038: BEB900FF 00000080
	s_mov_b32 s58, 0x800                                       // 000000003040: BEBA00FF 00000800
	s_mov_b32 s83, s58                                         // 000000003048: BED3003A
	s_mov_b32 s52, 0x7060302                                   // 00000000304C: BEB400FF 07060302
	s_mov_b32 s53, 0x400                                       // 000000003054: BEB500FF 00000400
	s_mov_b32 s54, 0x40100                                     // 00000000305C: BEB600FF 00040100
	s_mov_b32 s55, 0x4020100                                   // 000000003064: BEB700FF 04020100
	s_mov_b32 s6, 0x3fb8aa3b                                   // 00000000306C: BE8600FF 3FB8AA3B
	s_mov_b32 s78, 0xbd92220c                                  // 000000003074: BECE00FF BD92220C
	s_mov_b32 s79, 0xbd92220c                                  // 00000000307C: BECF00FF BD92220C
	s_mov_b32 m0, s48                                          // 000000003084: BEFC0030
	v_mov_b32_e32 v1, 0xbfcc4231                               // 000000003088: 7E0202FF BFCC4231
	v_mov_b32_e32 v17, 0xffff0000                              // 000000003090: 7E2202FF FFFF0000
	v_mov_b32_e32 v18, 0x7fff0000                              // 000000003098: 7E2402FF 7FFF0000
	v_mov_b32_e32 v19, 0x7fff                                  // 0000000030A0: 7E2602FF 00007FFF
	s_waitcnt vmcnt(0) expcnt(0) lgkmcnt(0)                    // 0000000030A8: BF8C0000
	v_lshrrev_b32_e32 v4, 5, v0                                // 0000000030AC: 20080085
	v_xor_b32_e32 v5, 1, v4                                    // 0000000030B0: 2A0A0881
	v_readlane_b32 s82, v3, 0                                  // 0000000030B4: D2890052 00010103
	s_and_b32 s82, s82, 0xffffff                               // 0000000030BC: 8652FF52 00FFFFFF
	v_mul_lo_u32 v6, v5, s82                                   // 0000000030C4: D2850006 0000A505
	v_readlane_b32 s82, v3, 1                                  // 0000000030CC: D2890052 00010303
	s_and_b32 s82, s82, 0xffffff                               // 0000000030D4: 8652FF52 00FFFFFF
	v_mul_lo_u32 v7, v4, s82                                   // 0000000030DC: D2850007 0000A504
	v_add_u32_e32 v60, v6, v7                                  // 0000000030E4: 68780F06
	v_mul_lo_u32 v60, v60, s68                                 // 0000000030E8: D285003C 0000893C
	v_readlane_b32 s82, v3, 2                                  // 0000000030F0: D2890052 00010503
	s_and_b32 s82, s82, 0xffffff                               // 0000000030F8: 8652FF52 00FFFFFF
	v_mul_lo_u32 v6, v5, s82                                   // 000000003100: D2850006 0000A505
	v_readlane_b32 s82, v3, 3                                  // 000000003108: D2890052 00010703
	s_and_b32 s82, s82, 0xffffff                               // 000000003110: 8652FF52 00FFFFFF
	v_mul_lo_u32 v7, v4, s82                                   // 000000003118: D2850007 0000A504
	v_add_u32_e32 v61, v6, v7                                  // 000000003120: 687A0F06
	v_mul_lo_u32 v61, v61, s68                                 // 000000003124: D285003D 0000893D
	v_readlane_b32 s82, v3, 4                                  // 00000000312C: D2890052 00010903
	s_and_b32 s82, s82, 0xffffff                               // 000000003134: 8652FF52 00FFFFFF
	v_mul_lo_u32 v6, v5, s82                                   // 00000000313C: D2850006 0000A505
	v_readlane_b32 s82, v3, 5                                  // 000000003144: D2890052 00010B03
	s_and_b32 s82, s82, 0xffffff                               // 00000000314C: 8652FF52 00FFFFFF
	v_mul_lo_u32 v7, v4, s82                                   // 000000003154: D2850007 0000A504
	v_add_u32_e32 v62, v6, v7                                  // 00000000315C: 687C0F06
	v_mul_lo_u32 v62, v62, s68                                 // 000000003160: D285003E 0000893E
	v_readlane_b32 s82, v3, 6                                  // 000000003168: D2890052 00010D03
	s_and_b32 s82, s82, 0xffffff                               // 000000003170: 8652FF52 00FFFFFF
	v_mul_lo_u32 v6, v5, s82                                   // 000000003178: D2850006 0000A505
	v_readlane_b32 s82, v3, 7                                  // 000000003180: D2890052 00010F03
	s_and_b32 s82, s82, 0xffffff                               // 000000003188: 8652FF52 00FFFFFF
	v_mul_lo_u32 v7, v4, s82                                   // 000000003190: D2850007 0000A504
	v_add_u32_e32 v63, v6, v7                                  // 000000003198: 687E0F06
	v_mul_lo_u32 v63, v63, s68                                 // 00000000319C: D285003F 0000893F
	v_readlane_b32 s82, v3, 8                                  // 0000000031A4: D2890052 00011103
	s_and_b32 s82, s82, 0xffffff                               // 0000000031AC: 8652FF52 00FFFFFF
	v_mul_lo_u32 v6, v5, s82                                   // 0000000031B4: D2850006 0000A505
	v_readlane_b32 s82, v3, 9                                  // 0000000031BC: D2890052 00011303
	s_and_b32 s82, s82, 0xffffff                               // 0000000031C4: 8652FF52 00FFFFFF
	v_mul_lo_u32 v7, v4, s82                                   // 0000000031CC: D2850007 0000A504
	v_add_u32_e32 v64, v6, v7                                  // 0000000031D4: 68800F06
	v_mul_lo_u32 v64, v64, s68                                 // 0000000031D8: D2850040 00008940
	v_readlane_b32 s82, v3, 10                                 // 0000000031E0: D2890052 00011503
	s_and_b32 s82, s82, 0xffffff                               // 0000000031E8: 8652FF52 00FFFFFF
	v_mul_lo_u32 v6, v5, s82                                   // 0000000031F0: D2850006 0000A505
	v_readlane_b32 s82, v3, 11                                 // 0000000031F8: D2890052 00011703
	s_and_b32 s82, s82, 0xffffff                               // 000000003200: 8652FF52 00FFFFFF
	v_mul_lo_u32 v7, v4, s82                                   // 000000003208: D2850007 0000A504
	v_add_u32_e32 v65, v6, v7                                  // 000000003210: 68820F06
	v_mul_lo_u32 v65, v65, s68                                 // 000000003214: D2850041 00008941
	v_readlane_b32 s82, v3, 12                                 // 00000000321C: D2890052 00011903
	s_and_b32 s82, s82, 0xffffff                               // 000000003224: 8652FF52 00FFFFFF
	v_mul_lo_u32 v6, v5, s82                                   // 00000000322C: D2850006 0000A505
	v_readlane_b32 s82, v3, 13                                 // 000000003234: D2890052 00011B03
	s_and_b32 s82, s82, 0xffffff                               // 00000000323C: 8652FF52 00FFFFFF
	v_mul_lo_u32 v7, v4, s82                                   // 000000003244: D2850007 0000A504
	v_add_u32_e32 v66, v6, v7                                  // 00000000324C: 68840F06
	v_mul_lo_u32 v66, v66, s68                                 // 000000003250: D2850042 00008942
	v_readlane_b32 s82, v3, 14                                 // 000000003258: D2890052 00011D03
	s_and_b32 s82, s82, 0xffffff                               // 000000003260: 8652FF52 00FFFFFF
	v_mul_lo_u32 v6, v5, s82                                   // 000000003268: D2850006 0000A505
	v_readlane_b32 s82, v3, 15                                 // 000000003270: D2890052 00011F03
	s_and_b32 s82, s82, 0xffffff                               // 000000003278: 8652FF52 00FFFFFF
	v_mul_lo_u32 v7, v4, s82                                   // 000000003280: D2850007 0000A504
	v_add_u32_e32 v67, v6, v7                                  // 000000003288: 68860F06
	v_mul_lo_u32 v67, v67, s68                                 // 00000000328C: D2850043 00008943
	v_readlane_b32 s82, v3, 16                                 // 000000003294: D2890052 00012103
	s_and_b32 s82, s82, 0xffffff                               // 00000000329C: 8652FF52 00FFFFFF
	v_mul_lo_u32 v6, v5, s82                                   // 0000000032A4: D2850006 0000A505
	v_readlane_b32 s82, v3, 17                                 // 0000000032AC: D2890052 00012303
	s_and_b32 s82, s82, 0xffffff                               // 0000000032B4: 8652FF52 00FFFFFF
	v_mul_lo_u32 v7, v4, s82                                   // 0000000032BC: D2850007 0000A504
	v_add_u32_e32 v68, v6, v7                                  // 0000000032C4: 68880F06
	v_mul_lo_u32 v68, v68, s68                                 // 0000000032C8: D2850044 00008944
	v_readlane_b32 s82, v3, 18                                 // 0000000032D0: D2890052 00012503
	s_and_b32 s82, s82, 0xffffff                               // 0000000032D8: 8652FF52 00FFFFFF
	v_mul_lo_u32 v6, v5, s82                                   // 0000000032E0: D2850006 0000A505
	v_readlane_b32 s82, v3, 19                                 // 0000000032E8: D2890052 00012703
	s_and_b32 s82, s82, 0xffffff                               // 0000000032F0: 8652FF52 00FFFFFF
	v_mul_lo_u32 v7, v4, s82                                   // 0000000032F8: D2850007 0000A504
	v_add_u32_e32 v69, v6, v7                                  // 000000003300: 688A0F06
	v_mul_lo_u32 v69, v69, s68                                 // 000000003304: D2850045 00008945
	v_readlane_b32 s82, v3, 20                                 // 00000000330C: D2890052 00012903
	s_and_b32 s82, s82, 0xffffff                               // 000000003314: 8652FF52 00FFFFFF
	v_mul_lo_u32 v6, v5, s82                                   // 00000000331C: D2850006 0000A505
	v_readlane_b32 s82, v3, 21                                 // 000000003324: D2890052 00012B03
	s_and_b32 s82, s82, 0xffffff                               // 00000000332C: 8652FF52 00FFFFFF
	v_mul_lo_u32 v7, v4, s82                                   // 000000003334: D2850007 0000A504
	v_add_u32_e32 v70, v6, v7                                  // 00000000333C: 688C0F06
	v_mul_lo_u32 v70, v70, s68                                 // 000000003340: D2850046 00008946
	v_readlane_b32 s82, v3, 22                                 // 000000003348: D2890052 00012D03
	s_and_b32 s82, s82, 0xffffff                               // 000000003350: 8652FF52 00FFFFFF
	v_mul_lo_u32 v6, v5, s82                                   // 000000003358: D2850006 0000A505
	v_readlane_b32 s82, v3, 23                                 // 000000003360: D2890052 00012F03
	s_and_b32 s82, s82, 0xffffff                               // 000000003368: 8652FF52 00FFFFFF
	v_mul_lo_u32 v7, v4, s82                                   // 000000003370: D2850007 0000A504
	v_add_u32_e32 v71, v6, v7                                  // 000000003378: 688E0F06
	v_mul_lo_u32 v71, v71, s68                                 // 00000000337C: D2850047 00008947
	v_readlane_b32 s82, v3, 24                                 // 000000003384: D2890052 00013103
	s_and_b32 s82, s82, 0xffffff                               // 00000000338C: 8652FF52 00FFFFFF
	v_mul_lo_u32 v6, v5, s82                                   // 000000003394: D2850006 0000A505
	v_readlane_b32 s82, v3, 25                                 // 00000000339C: D2890052 00013303
	s_and_b32 s82, s82, 0xffffff                               // 0000000033A4: 8652FF52 00FFFFFF
	v_mul_lo_u32 v7, v4, s82                                   // 0000000033AC: D2850007 0000A504
	v_add_u32_e32 v72, v6, v7                                  // 0000000033B4: 68900F06
	v_mul_lo_u32 v72, v72, s68                                 // 0000000033B8: D2850048 00008948
	v_readlane_b32 s82, v3, 26                                 // 0000000033C0: D2890052 00013503
	s_and_b32 s82, s82, 0xffffff                               // 0000000033C8: 8652FF52 00FFFFFF
	v_mul_lo_u32 v6, v5, s82                                   // 0000000033D0: D2850006 0000A505
	v_readlane_b32 s82, v3, 27                                 // 0000000033D8: D2890052 00013703
	s_and_b32 s82, s82, 0xffffff                               // 0000000033E0: 8652FF52 00FFFFFF
	v_mul_lo_u32 v7, v4, s82                                   // 0000000033E8: D2850007 0000A504
	v_add_u32_e32 v73, v6, v7                                  // 0000000033F0: 68920F06
	v_mul_lo_u32 v73, v73, s68                                 // 0000000033F4: D2850049 00008949
	v_readlane_b32 s82, v3, 28                                 // 0000000033FC: D2890052 00013903
	s_and_b32 s82, s82, 0xffffff                               // 000000003404: 8652FF52 00FFFFFF
	v_mul_lo_u32 v6, v5, s82                                   // 00000000340C: D2850006 0000A505
	v_readlane_b32 s82, v3, 29                                 // 000000003414: D2890052 00013B03
	s_and_b32 s82, s82, 0xffffff                               // 00000000341C: 8652FF52 00FFFFFF
	v_mul_lo_u32 v7, v4, s82                                   // 000000003424: D2850007 0000A504
	v_add_u32_e32 v74, v6, v7                                  // 00000000342C: 68940F06
	v_mul_lo_u32 v74, v74, s68                                 // 000000003430: D285004A 0000894A
	v_readlane_b32 s82, v3, 30                                 // 000000003438: D2890052 00013D03
	s_and_b32 s82, s82, 0xffffff                               // 000000003440: 8652FF52 00FFFFFF
	v_mul_lo_u32 v6, v5, s82                                   // 000000003448: D2850006 0000A505
	v_readlane_b32 s82, v3, 31                                 // 000000003450: D2890052 00013F03
	s_and_b32 s82, s82, 0xffffff                               // 000000003458: 8652FF52 00FFFFFF
	v_mul_lo_u32 v7, v4, s82                                   // 000000003460: D2850007 0000A504
	v_add_u32_e32 v75, v6, v7                                  // 000000003468: 68960F06
	v_mul_lo_u32 v75, v75, s68                                 // 00000000346C: D285004B 0000894B
	v_and_b32_e32 v4, 31, v0                                   // 000000003474: 2608009F
	v_lshlrev_b32_e32 v4, 2, v4                                // 000000003478: 24080882
	v_add_u32_e32 v60, v60, v4                                 // 00000000347C: 6878093C
	v_add_u32_e32 v61, v61, v4                                 // 000000003480: 687A093D
	v_add_u32_e32 v62, v62, v4                                 // 000000003484: 687C093E
	v_add_u32_e32 v63, v63, v4                                 // 000000003488: 687E093F
	v_add_u32_e32 v64, v64, v4                                 // 00000000348C: 68800940
	v_add_u32_e32 v65, v65, v4                                 // 000000003490: 68820941
	v_add_u32_e32 v66, v66, v4                                 // 000000003494: 68840942
	;; [unrolled: 1-line block ×3, first 2 shown]
	v_add_u32_e32 v68, v68, v4                                 // 00000000349C: 68880944
	v_add_u32_e32 v69, v69, v4                                 // 0000000034A0: 688A0945
	v_add_u32_e32 v70, v70, v4                                 // 0000000034A4: 688C0946
	v_add_u32_e32 v71, v71, v4                                 // 0000000034A8: 688E0947
	v_add_u32_e32 v72, v72, v4                                 // 0000000034AC: 68900948
	v_add_u32_e32 v73, v73, v4                                 // 0000000034B0: 68920949
	v_add_u32_e32 v74, v74, v4                                 // 0000000034B4: 6894094A
	v_add_u32_e32 v75, v75, v4                                 // 0000000034B8: 6896094B
	v_and_b32_e32 v28, 0xffffff, v28                           // 0000000034BC: 263838FF 00FFFFFF
	v_lshlrev_b32_e32 v28, 2, v28                              // 0000000034C4: 24383882
	v_and_b32_e32 v29, 0xffffff, v29                           // 0000000034C8: 263A3AFF 00FFFFFF
	v_lshlrev_b32_e32 v29, 2, v29                              // 0000000034D0: 243A3A82
	v_and_b32_e32 v30, 0xffffff, v30                           // 0000000034D4: 263C3CFF 00FFFFFF
	v_lshlrev_b32_e32 v30, 2, v30                              // 0000000034DC: 243C3C82
	v_and_b32_e32 v31, 0xffffff, v31                           // 0000000034E0: 263E3EFF 00FFFFFF
	v_lshlrev_b32_e32 v31, 2, v31                              // 0000000034E8: 243E3E82
	v_and_b32_e32 v32, 0xffffff, v32                           // 0000000034EC: 264040FF 00FFFFFF
	v_lshlrev_b32_e32 v32, 2, v32                              // 0000000034F4: 24404082
	v_and_b32_e32 v33, 0xffffff, v33                           // 0000000034F8: 264242FF 00FFFFFF
	v_lshlrev_b32_e32 v33, 2, v33                              // 000000003500: 24424282
	v_and_b32_e32 v34, 0xffffff, v34                           // 000000003504: 264444FF 00FFFFFF
	v_lshlrev_b32_e32 v34, 2, v34                              // 00000000350C: 24444482
	v_and_b32_e32 v35, 0xffffff, v35                           // 000000003510: 264646FF 00FFFFFF
	v_lshlrev_b32_e32 v35, 2, v35                              // 000000003518: 24464682
	s_lshl_b32 s3, s66, 2                                      // 00000000351C: 8E038242
	buffer_load_dword v36, v28, s[28:31], 0 offen              // 000000003520: E0501000 8007241C
	buffer_load_dword v37, v29, s[28:31], 0 offen              // 000000003528: E0501000 8007251D
	buffer_load_dword v38, v30, s[28:31], 0 offen              // 000000003530: E0501000 8007261E
	buffer_load_dword v39, v31, s[28:31], 0 offen              // 000000003538: E0501000 8007271F
	buffer_load_dword v40, v32, s[28:31], 0 offen              // 000000003540: E0501000 80072820
	buffer_load_dword v41, v33, s[28:31], 0 offen              // 000000003548: E0501000 80072921
	buffer_load_dword v42, v34, s[28:31], 0 offen              // 000000003550: E0501000 80072A22
	buffer_load_dword v43, v35, s[28:31], 0 offen              // 000000003558: E0501000 80072B23
	buffer_load_dword v24, v22, s[32:35], 0 offen              // 000000003560: E0501000 80081816
	s_mul_i32 s60, 4, s65                                      // 000000003568: 923C4184
	s_add_u32 s32, s60, s32                                    // 00000000356C: 8020203C
	s_addc_u32 s33, 0, s33                                     // 000000003570: 82212180
	buffer_load_dword v26, v22, s[32:35], 0 offen              // 000000003574: E0501000 80081A16
	buffer_load_dword v60, s[20:23], 0 offen lds               // 00000000357C: E0511000 8005003C
	s_add_u32 m0, 0x100, s48                                   // 000000003584: 807C30FF 00000100
	buffer_load_dword v61, s[20:23], 0 offen lds               // 00000000358C: E0511000 8005003D
	s_add_u32 m0, 0x200, s48                                   // 000000003594: 807C30FF 00000200
	buffer_load_dword v62, s[20:23], 0 offen lds               // 00000000359C: E0511000 8005003E
	s_add_u32 m0, 0x300, s48                                   // 0000000035A4: 807C30FF 00000300
	buffer_load_dword v63, s[20:23], 0 offen lds               // 0000000035AC: E0511000 8005003F
	s_add_u32 m0, 0x400, s48                                   // 0000000035B4: 807C30FF 00000400
	buffer_load_dword v64, s[20:23], 0 offen lds               // 0000000035BC: E0511000 80050040
	s_add_u32 m0, 0x500, s48                                   // 0000000035C4: 807C30FF 00000500
	buffer_load_dword v65, s[20:23], 0 offen lds               // 0000000035CC: E0511000 80050041
	s_add_u32 m0, 0x600, s48                                   // 0000000035D4: 807C30FF 00000600
	buffer_load_dword v66, s[20:23], 0 offen lds               // 0000000035DC: E0511000 80050042
	s_add_u32 m0, 0x700, s48                                   // 0000000035E4: 807C30FF 00000700
	buffer_load_dword v67, s[20:23], 0 offen lds               // 0000000035EC: E0511000 80050043
	s_add_u32 m0, 0x800, s48                                   // 0000000035F4: 807C30FF 00000800
	buffer_load_dword v68, s[20:23], 0 offen lds               // 0000000035FC: E0511000 80050044
	s_add_u32 m0, 0x900, s48                                   // 000000003604: 807C30FF 00000900
	buffer_load_dword v69, s[20:23], 0 offen lds               // 00000000360C: E0511000 80050045
	s_add_u32 m0, 0xa00, s48                                   // 000000003614: 807C30FF 00000A00
	buffer_load_dword v70, s[20:23], 0 offen lds               // 00000000361C: E0511000 80050046
	s_add_u32 m0, 0xb00, s48                                   // 000000003624: 807C30FF 00000B00
	buffer_load_dword v71, s[20:23], 0 offen lds               // 00000000362C: E0511000 80050047
	s_add_u32 m0, 0xc00, s48                                   // 000000003634: 807C30FF 00000C00
	buffer_load_dword v72, s[20:23], 0 offen lds               // 00000000363C: E0511000 80050048
	s_add_u32 m0, 0xd00, s48                                   // 000000003644: 807C30FF 00000D00
	buffer_load_dword v73, s[20:23], 0 offen lds               // 00000000364C: E0511000 80050049
	s_add_u32 m0, 0xe00, s48                                   // 000000003654: 807C30FF 00000E00
	buffer_load_dword v74, s[20:23], 0 offen lds               // 00000000365C: E0511000 8005004A
	s_add_u32 m0, 0xf00, s48                                   // 000000003664: 807C30FF 00000F00
	buffer_load_dword v75, s[20:23], 0 offen lds               // 00000000366C: E0511000 8005004B
	s_add_u32 m0, 0, s49                                       // 000000003674: 807C3180
	s_add_u32 s20, s57, s20                                    // 000000003678: 80141439
	s_addc_u32 s21, 0, s21                                     // 00000000367C: 82151580
	buffer_load_dword v60, s[20:23], 0 offen lds               // 000000003680: E0511000 8005003C
	s_add_u32 m0, 0x100, s49                                   // 000000003688: 807C31FF 00000100
	buffer_load_dword v61, s[20:23], 0 offen lds               // 000000003690: E0511000 8005003D
	s_add_u32 m0, 0x200, s49                                   // 000000003698: 807C31FF 00000200
	buffer_load_dword v62, s[20:23], 0 offen lds               // 0000000036A0: E0511000 8005003E
	s_add_u32 m0, 0x300, s49                                   // 0000000036A8: 807C31FF 00000300
	buffer_load_dword v63, s[20:23], 0 offen lds               // 0000000036B0: E0511000 8005003F
	s_add_u32 m0, 0x400, s49                                   // 0000000036B8: 807C31FF 00000400
	buffer_load_dword v64, s[20:23], 0 offen lds               // 0000000036C0: E0511000 80050040
	s_add_u32 m0, 0x500, s49                                   // 0000000036C8: 807C31FF 00000500
	buffer_load_dword v65, s[20:23], 0 offen lds               // 0000000036D0: E0511000 80050041
	s_add_u32 m0, 0x600, s49                                   // 0000000036D8: 807C31FF 00000600
	buffer_load_dword v66, s[20:23], 0 offen lds               // 0000000036E0: E0511000 80050042
	s_add_u32 m0, 0x700, s49                                   // 0000000036E8: 807C31FF 00000700
	buffer_load_dword v67, s[20:23], 0 offen lds               // 0000000036F0: E0511000 80050043
	s_add_u32 m0, 0x800, s49                                   // 0000000036F8: 807C31FF 00000800
	buffer_load_dword v68, s[20:23], 0 offen lds               // 000000003700: E0511000 80050044
	s_add_u32 m0, 0x900, s49                                   // 000000003708: 807C31FF 00000900
	buffer_load_dword v69, s[20:23], 0 offen lds               // 000000003710: E0511000 80050045
	s_add_u32 m0, 0xa00, s49                                   // 000000003718: 807C31FF 00000A00
	buffer_load_dword v70, s[20:23], 0 offen lds               // 000000003720: E0511000 80050046
	s_add_u32 m0, 0xb00, s49                                   // 000000003728: 807C31FF 00000B00
	buffer_load_dword v71, s[20:23], 0 offen lds               // 000000003730: E0511000 80050047
	s_add_u32 m0, 0xc00, s49                                   // 000000003738: 807C31FF 00000C00
	buffer_load_dword v72, s[20:23], 0 offen lds               // 000000003740: E0511000 80050048
	s_add_u32 m0, 0xd00, s49                                   // 000000003748: 807C31FF 00000D00
	buffer_load_dword v73, s[20:23], 0 offen lds               // 000000003750: E0511000 80050049
	s_add_u32 m0, 0xe00, s49                                   // 000000003758: 807C31FF 00000E00
	buffer_load_dword v74, s[20:23], 0 offen lds               // 000000003760: E0511000 8005004A
	s_add_u32 m0, 0xf00, s49                                   // 000000003768: 807C31FF 00000F00
	buffer_load_dword v75, s[20:23], 0 offen lds               // 000000003770: E0511000 8005004B
	s_add_u32 m0, 0, s48                                       // 000000003778: 807C3080
	s_add_u32 s20, s57, s20                                    // 00000000377C: 80141439
	s_addc_u32 s21, 0, s21                                     // 000000003780: 82151580
	buffer_load_dwordx4 a[128:131], v76, s[24:27], 0 offen     // 000000003784: E05C1000 8086804C
	buffer_load_dwordx4 a[132:135], v76, s[24:27], 0 offen offset:1024// 00000000378C: E05C1400 8086844C
	buffer_load_dwordx4 a[136:139], v77, s[24:27], 0 offen     // 000000003794: E05C1000 8086884D
	buffer_load_dwordx4 a[140:143], v77, s[24:27], 0 offen offset:1024// 00000000379C: E05C1400 80868C4D
	s_add_u32 s24, s58, s24                                    // 0000000037A4: 8018183A
	s_addc_u32 s25, 0, s25                                     // 0000000037A8: 82191980
	s_waitcnt vmcnt(20)                                        // 0000000037AC: BF8C4F74
	s_barrier                                                  // 0000000037B0: BF8A0000
	ds_read_b128 a[0:3], v2                                    // 0000000037B4: DBFE0000 00000002
	ds_read_b128 a[4:7], v2 offset:64                          // 0000000037BC: DBFE0040 04000002
	ds_read_b128 a[8:11], v2 offset:512                        // 0000000037C4: DBFE0200 08000002
	ds_read_b128 a[12:15], v2 offset:576                       // 0000000037CC: DBFE0240 0C000002
	ds_read_b128 a[16:19], v2 offset:1024                      // 0000000037D4: DBFE0400 10000002
	ds_read_b128 a[20:23], v2 offset:1088                      // 0000000037DC: DBFE0440 14000002
	ds_read_b128 a[24:27], v2 offset:1536                      // 0000000037E4: DBFE0600 18000002
	ds_read_b128 a[28:31], v2 offset:1600                      // 0000000037EC: DBFE0640 1C000002
	ds_read_b128 a[32:35], v2 offset:2048                      // 0000000037F4: DBFE0800 20000002
	ds_read_b128 a[36:39], v2 offset:2112                      // 0000000037FC: DBFE0840 24000002
	ds_read_b128 a[40:43], v2 offset:2560                      // 000000003804: DBFE0A00 28000002
	ds_read_b128 a[44:47], v2 offset:2624                      // 00000000380C: DBFE0A40 2C000002
	ds_read_b128 a[48:51], v2 offset:3072                      // 000000003814: DBFE0C00 30000002
	ds_read_b128 a[52:55], v2 offset:3136                      // 00000000381C: DBFE0C40 34000002
	ds_read_b128 a[56:59], v2 offset:3584                      // 000000003824: DBFE0E00 38000002
	ds_read_b128 a[60:63], v2 offset:3648                      // 00000000382C: DBFE0E40 3C000002
	s_cmp_lt_i32 s7, 2                                         // 000000003834: BF048207
	s_cbranch_scc0 label_19A0                                  // 000000003838: BF84160E

000000000000383c <label_038F>:
	s_waitcnt vmcnt(2) lgkmcnt(0)                              // 00000000383C: BF8C0072
	s_barrier                                                  // 000000003840: BF8A0000
	v_mfma_f32_16x16x32_fp8_fp8 v[80:83], a[128:129], a[0:1], v[80:83]// 000000003844: D3F30050 1D420180
	v_mfma_f32_16x16x32_fp8_fp8 v[80:83], a[130:131], a[2:3], v[80:83]// 00000000384C: D3F30050 1D420582
	buffer_load_dwordx4 a[144:147], v76, s[84:87], 0 offen     // 000000003854: E05C1000 8095904C
	v_mfma_f32_16x16x32_fp8_fp8 v[80:83], a[132:133], a[4:5], v[80:83]// 00000000385C: D3F30050 1D420984
	v_mfma_f32_16x16x32_fp8_fp8 v[80:83], a[134:135], a[6:7], v[80:83]// 000000003864: D3F30050 1D420D86
	v_mfma_f32_16x16x32_fp8_fp8 v[84:87], a[128:129], a[8:9], v[84:87]// 00000000386C: D3F30054 1D521180
	v_mfma_f32_16x16x32_fp8_fp8 v[84:87], a[130:131], a[10:11], v[84:87]// 000000003874: D3F30054 1D521582
	buffer_load_dwordx4 a[148:151], v76, s[84:87], 0 offen offset:1024// 00000000387C: E05C1400 8095944C
	v_mfma_f32_16x16x32_fp8_fp8 v[84:87], a[132:133], a[12:13], v[84:87]// 000000003884: D3F30054 1D521984
	v_mfma_f32_16x16x32_fp8_fp8 v[84:87], a[134:135], a[14:15], v[84:87]// 00000000388C: D3F30054 1D521D86
	v_mfma_f32_16x16x32_fp8_fp8 v[88:91], a[128:129], a[16:17], v[88:91]// 000000003894: D3F30058 1D622180
	v_mfma_f32_16x16x32_fp8_fp8 v[88:91], a[130:131], a[18:19], v[88:91]// 00000000389C: D3F30058 1D622582
	buffer_load_dwordx4 a[152:155], v77, s[84:87], 0 offen     // 0000000038A4: E05C1000 8095984D
	v_mfma_f32_16x16x32_fp8_fp8 v[88:91], a[132:133], a[20:21], v[88:91]// 0000000038AC: D3F30058 1D622984
	v_mfma_f32_16x16x32_fp8_fp8 v[88:91], a[134:135], a[22:23], v[88:91]// 0000000038B4: D3F30058 1D622D86
	v_mfma_f32_16x16x32_fp8_fp8 v[92:95], a[128:129], a[24:25], v[92:95]// 0000000038BC: D3F3005C 1D723180
	v_mfma_f32_16x16x32_fp8_fp8 v[92:95], a[130:131], a[26:27], v[92:95]// 0000000038C4: D3F3005C 1D723582
	buffer_load_dwordx4 a[156:159], v77, s[84:87], 0 offen offset:1024// 0000000038CC: E05C1400 80959C4D
	buffer_load_dword v60, s[20:23], 0 offen lds               // 0000000038D4: E0511000 8005003C
	s_add_u32 m0, 0x100, s48                                   // 0000000038DC: 807C30FF 00000100
	v_mfma_f32_16x16x32_fp8_fp8 v[92:95], a[132:133], a[28:29], v[92:95]// 0000000038E4: D3F3005C 1D723984
	v_mfma_f32_16x16x32_fp8_fp8 v[92:95], a[134:135], a[30:31], v[92:95]// 0000000038EC: D3F3005C 1D723D86
	buffer_load_dword v61, s[20:23], 0 offen lds               // 0000000038F4: E0511000 8005003D
	s_add_u32 m0, 0x200, s48                                   // 0000000038FC: 807C30FF 00000200
	v_mfma_f32_16x16x32_fp8_fp8 v[96:99], a[128:129], a[32:33], v[96:99]// 000000003904: D3F30060 1D824180
	v_mfma_f32_16x16x32_fp8_fp8 v[96:99], a[130:131], a[34:35], v[96:99]// 00000000390C: D3F30060 1D824582
	v_mfma_f32_16x16x32_fp8_fp8 v[96:99], a[132:133], a[36:37], v[96:99]// 000000003914: D3F30060 1D824984
	v_mfma_f32_16x16x32_fp8_fp8 v[96:99], a[134:135], a[38:39], v[96:99]// 00000000391C: D3F30060 1D824D86
	v_mfma_f32_16x16x32_fp8_fp8 v[100:103], a[128:129], a[40:41], v[100:103]// 000000003924: D3F30064 1D925180
	v_mfma_f32_16x16x32_fp8_fp8 v[100:103], a[130:131], a[42:43], v[100:103]// 00000000392C: D3F30064 1D925582
	buffer_load_dword v62, s[20:23], 0 offen lds               // 000000003934: E0511000 8005003E
	s_add_u32 m0, 0x300, s48                                   // 00000000393C: 807C30FF 00000300
	v_mfma_f32_16x16x32_fp8_fp8 v[100:103], a[132:133], a[44:45], v[100:103]// 000000003944: D3F30064 1D925984
	v_mfma_f32_16x16x32_fp8_fp8 v[100:103], a[134:135], a[46:47], v[100:103]// 00000000394C: D3F30064 1D925D86
	buffer_load_dword v63, s[20:23], 0 offen lds               // 000000003954: E0511000 8005003F
	s_add_u32 m0, 0x400, s48                                   // 00000000395C: 807C30FF 00000400
	v_mfma_f32_16x16x32_fp8_fp8 v[104:107], a[128:129], a[48:49], v[104:107]// 000000003964: D3F30068 1DA26180
	v_mfma_f32_16x16x32_fp8_fp8 v[104:107], a[130:131], a[50:51], v[104:107]// 00000000396C: D3F30068 1DA26582
	v_mfma_f32_16x16x32_fp8_fp8 v[104:107], a[132:133], a[52:53], v[104:107]// 000000003974: D3F30068 1DA26984
	v_mfma_f32_16x16x32_fp8_fp8 v[104:107], a[134:135], a[54:55], v[104:107]// 00000000397C: D3F30068 1DA26D86
	v_mfma_f32_16x16x32_fp8_fp8 v[108:111], a[128:129], a[56:57], v[108:111]// 000000003984: D3F3006C 1DB27180
	v_mfma_f32_16x16x32_fp8_fp8 v[108:111], a[130:131], a[58:59], v[108:111]// 00000000398C: D3F3006C 1DB27582
	buffer_load_dword v64, s[20:23], 0 offen lds               // 000000003994: E0511000 80050040
	s_add_u32 m0, 0x500, s48                                   // 00000000399C: 807C30FF 00000500
	v_mfma_f32_16x16x32_fp8_fp8 v[108:111], a[132:133], a[60:61], v[108:111]// 0000000039A4: D3F3006C 1DB27984
	v_mfma_f32_16x16x32_fp8_fp8 v[108:111], a[134:135], a[62:63], v[108:111]// 0000000039AC: D3F3006C 1DB27D86
	buffer_load_dword v65, s[20:23], 0 offen lds               // 0000000039B4: E0511000 80050041
	s_add_u32 m0, 0x600, s48                                   // 0000000039BC: 807C30FF 00000600
	s_waitcnt vmcnt(10)                                        // 0000000039C4: BF8C0F7A
	v_mfma_f32_16x16x32_fp8_fp8 v[112:115], a[136:137], a[0:1], v[112:115]// 0000000039C8: D3F30070 1DC20188
	v_mfma_f32_16x16x32_fp8_fp8 v[112:115], a[138:139], a[2:3], v[112:115]// 0000000039D0: D3F30070 1DC2058A
	buffer_load_dword v66, s[20:23], 0 offen lds               // 0000000039D8: E0511000 80050042
	s_add_u32 m0, 0x700, s48                                   // 0000000039E0: 807C30FF 00000700
	v_mfma_f32_16x16x32_fp8_fp8 v[112:115], a[140:141], a[4:5], v[112:115]// 0000000039E8: D3F30070 1DC2098C
	v_mfma_f32_16x16x32_fp8_fp8 v[112:115], a[142:143], a[6:7], v[112:115]// 0000000039F0: D3F30070 1DC20D8E
	buffer_load_dword v67, s[20:23], 0 offen lds               // 0000000039F8: E0511000 80050043
	s_add_u32 m0, 0x800, s48                                   // 000000003A00: 807C30FF 00000800
	v_mfma_f32_16x16x32_fp8_fp8 v[116:119], a[136:137], a[8:9], v[116:119]// 000000003A08: D3F30074 1DD21188
	v_mfma_f32_16x16x32_fp8_fp8 v[116:119], a[138:139], a[10:11], v[116:119]// 000000003A10: D3F30074 1DD2158A
	buffer_load_dword v68, s[20:23], 0 offen lds               // 000000003A18: E0511000 80050044
	s_add_u32 m0, 0x900, s48                                   // 000000003A20: 807C30FF 00000900
	v_mfma_f32_16x16x32_fp8_fp8 v[116:119], a[140:141], a[12:13], v[116:119]// 000000003A28: D3F30074 1DD2198C
	v_mfma_f32_16x16x32_fp8_fp8 v[116:119], a[142:143], a[14:15], v[116:119]// 000000003A30: D3F30074 1DD21D8E
	buffer_load_dword v69, s[20:23], 0 offen lds               // 000000003A38: E0511000 80050045
	s_add_u32 m0, 0xa00, s48                                   // 000000003A40: 807C30FF 00000A00
	v_mfma_f32_16x16x32_fp8_fp8 v[120:123], a[136:137], a[16:17], v[120:123]// 000000003A48: D3F30078 1DE22188
	v_mfma_f32_16x16x32_fp8_fp8 v[120:123], a[138:139], a[18:19], v[120:123]// 000000003A50: D3F30078 1DE2258A
	buffer_load_dword v70, s[20:23], 0 offen lds               // 000000003A58: E0511000 80050046
	s_add_u32 m0, 0xb00, s48                                   // 000000003A60: 807C30FF 00000B00
	v_mfma_f32_16x16x32_fp8_fp8 v[120:123], a[140:141], a[20:21], v[120:123]// 000000003A68: D3F30078 1DE2298C
	v_mfma_f32_16x16x32_fp8_fp8 v[120:123], a[142:143], a[22:23], v[120:123]// 000000003A70: D3F30078 1DE22D8E
	buffer_load_dword v71, s[20:23], 0 offen lds               // 000000003A78: E0511000 80050047
	s_add_u32 m0, 0xc00, s48                                   // 000000003A80: 807C30FF 00000C00
	v_mfma_f32_16x16x32_fp8_fp8 v[124:127], a[136:137], a[24:25], v[124:127]// 000000003A88: D3F3007C 1DF23188
	v_mfma_f32_16x16x32_fp8_fp8 v[124:127], a[138:139], a[26:27], v[124:127]// 000000003A90: D3F3007C 1DF2358A
	buffer_load_dword v72, s[20:23], 0 offen lds               // 000000003A98: E0511000 80050048
	s_add_u32 m0, 0xd00, s48                                   // 000000003AA0: 807C30FF 00000D00
	v_mfma_f32_16x16x32_fp8_fp8 v[124:127], a[140:141], a[28:29], v[124:127]// 000000003AA8: D3F3007C 1DF2398C
	v_mfma_f32_16x16x32_fp8_fp8 v[124:127], a[142:143], a[30:31], v[124:127]// 000000003AB0: D3F3007C 1DF23D8E
	buffer_load_dword v73, s[20:23], 0 offen lds               // 000000003AB8: E0511000 80050049
	s_add_u32 m0, 0xe00, s48                                   // 000000003AC0: 807C30FF 00000E00
	v_mfma_f32_16x16x32_fp8_fp8 v[128:131], a[136:137], a[32:33], v[128:131]// 000000003AC8: D3F30080 1E024188
	v_mfma_f32_16x16x32_fp8_fp8 v[128:131], a[138:139], a[34:35], v[128:131]// 000000003AD0: D3F30080 1E02458A
	v_mfma_f32_16x16x32_fp8_fp8 v[128:131], a[140:141], a[36:37], v[128:131]// 000000003AD8: D3F30080 1E02498C
	v_mfma_f32_16x16x32_fp8_fp8 v[128:131], a[142:143], a[38:39], v[128:131]// 000000003AE0: D3F30080 1E024D8E
	v_mfma_f32_16x16x32_fp8_fp8 v[132:135], a[136:137], a[40:41], v[132:135]// 000000003AE8: D3F30084 1E125188
	v_mfma_f32_16x16x32_fp8_fp8 v[132:135], a[138:139], a[42:43], v[132:135]// 000000003AF0: D3F30084 1E12558A
	buffer_load_dword v74, s[20:23], 0 offen lds               // 000000003AF8: E0511000 8005004A
	s_add_u32 m0, 0xf00, s48                                   // 000000003B00: 807C30FF 00000F00
	v_mfma_f32_16x16x32_fp8_fp8 v[132:135], a[140:141], a[44:45], v[132:135]// 000000003B08: D3F30084 1E12598C
	v_mfma_f32_16x16x32_fp8_fp8 v[132:135], a[142:143], a[46:47], v[132:135]// 000000003B10: D3F30084 1E125D8E
	buffer_load_dword v75, s[20:23], 0 offen lds               // 000000003B18: E0511000 8005004B
	s_add_u32 m0, 0, s49                                       // 000000003B20: 807C3180
	v_mfma_f32_16x16x32_fp8_fp8 v[136:139], a[136:137], a[48:49], v[136:139]// 000000003B24: D3F30088 1E226188
	v_mfma_f32_16x16x32_fp8_fp8 v[136:139], a[138:139], a[50:51], v[136:139]// 000000003B2C: D3F30088 1E22658A
	v_mfma_f32_16x16x32_fp8_fp8 v[136:139], a[140:141], a[52:53], v[136:139]// 000000003B34: D3F30088 1E22698C
	v_mfma_f32_16x16x32_fp8_fp8 v[136:139], a[142:143], a[54:55], v[136:139]// 000000003B3C: D3F30088 1E226D8E
	v_mfma_f32_16x16x32_fp8_fp8 v[140:143], a[136:137], a[56:57], v[140:143]// 000000003B44: D3F3008C 1E327188
	v_mfma_f32_16x16x32_fp8_fp8 v[140:143], a[138:139], a[58:59], v[140:143]// 000000003B4C: D3F3008C 1E32758A
	s_add_u32 s60, 0x80, s80                                   // 000000003B54: 803C50FF 00000080
	s_cmp_lt_u32 s60, s81                                      // 000000003B5C: BF0A513C
	s_cselect_b32 s83, s83, 0                                  // 000000003B60: 85538053
	v_mfma_f32_16x16x32_fp8_fp8 v[140:143], a[140:141], a[60:61], v[140:143]// 000000003B64: D3F3008C 1E32798C
	v_mfma_f32_16x16x32_fp8_fp8 v[140:143], a[142:143], a[62:63], v[140:143]// 000000003B6C: D3F3008C 1E327D8E
	s_waitcnt vmcnt(16)                                        // 000000003B74: BF8C4F70
	v_mfma_f32_16x16x32_fp8_fp8 v[144:147], a[144:145], a[0:1], v[144:147]// 000000003B78: D3F30090 1E420190
	v_mfma_f32_16x16x32_fp8_fp8 v[144:147], a[146:147], a[2:3], v[144:147]// 000000003B80: D3F30090 1E420592
	buffer_load_dwordx4 a[128:131], v76, s[24:27], 0 offen     // 000000003B88: E05C1000 8086804C
	v_mfma_f32_16x16x32_fp8_fp8 v[144:147], a[148:149], a[4:5], v[144:147]// 000000003B90: D3F30090 1E420994
	v_mfma_f32_16x16x32_fp8_fp8 v[144:147], a[150:151], a[6:7], v[144:147]// 000000003B98: D3F30090 1E420D96
	ds_read_b128 a[64:67], v2 offset:16512                     // 000000003BA0: DBFE4080 40000002
	ds_read_b128 a[68:71], v2 offset:16576                     // 000000003BA8: DBFE40C0 44000002
	v_mfma_f32_16x16x32_fp8_fp8 v[176:179], a[152:153], a[0:1], v[176:179]// 000000003BB0: D3F300B0 1EC20198
	v_mfma_f32_16x16x32_fp8_fp8 v[176:179], a[154:155], a[2:3], v[176:179]// 000000003BB8: D3F300B0 1EC2059A
	buffer_load_dwordx4 a[132:135], v76, s[24:27], 0 offen offset:1024// 000000003BC0: E05C1400 8086844C
	v_mfma_f32_16x16x32_fp8_fp8 v[176:179], a[156:157], a[4:5], v[176:179]// 000000003BC8: D3F300B0 1EC2099C
	v_mfma_f32_16x16x32_fp8_fp8 v[176:179], a[158:159], a[6:7], v[176:179]// 000000003BD0: D3F300B0 1EC20D9E
	ds_read_b128 a[72:75], v2 offset:17024                     // 000000003BD8: DBFE4280 48000002
	ds_read_b128 a[76:79], v2 offset:17088                     // 000000003BE0: DBFE42C0 4C000002
	v_mfma_f32_16x16x32_fp8_fp8 v[148:151], a[144:145], a[8:9], v[148:151]// 000000003BE8: D3F30094 1E521190
	v_mfma_f32_16x16x32_fp8_fp8 v[148:151], a[146:147], a[10:11], v[148:151]// 000000003BF0: D3F30094 1E521592
	buffer_load_dwordx4 a[136:139], v77, s[24:27], 0 offen     // 000000003BF8: E05C1000 8086884D
	v_mfma_f32_16x16x32_fp8_fp8 v[148:151], a[148:149], a[12:13], v[148:151]// 000000003C00: D3F30094 1E521994
	v_mfma_f32_16x16x32_fp8_fp8 v[148:151], a[150:151], a[14:15], v[148:151]// 000000003C08: D3F30094 1E521D96
	ds_read_b128 a[80:83], v2 offset:17536                     // 000000003C10: DBFE4480 50000002
	ds_read_b128 a[84:87], v2 offset:17600                     // 000000003C18: DBFE44C0 54000002
	v_mfma_f32_16x16x32_fp8_fp8 v[180:183], a[152:153], a[8:9], v[180:183]// 000000003C20: D3F300B4 1ED21198
	v_mfma_f32_16x16x32_fp8_fp8 v[180:183], a[154:155], a[10:11], v[180:183]// 000000003C28: D3F300B4 1ED2159A
	buffer_load_dwordx4 a[140:143], v77, s[24:27], 0 offen offset:1024// 000000003C30: E05C1400 80868C4D
	v_mfma_f32_16x16x32_fp8_fp8 v[180:183], a[156:157], a[12:13], v[180:183]// 000000003C38: D3F300B4 1ED2199C
	v_mfma_f32_16x16x32_fp8_fp8 v[180:183], a[158:159], a[14:15], v[180:183]// 000000003C40: D3F300B4 1ED21D9E
	ds_read_b128 a[88:91], v2 offset:18048                     // 000000003C48: DBFE4680 58000002
	ds_read_b128 a[92:95], v2 offset:18112                     // 000000003C50: DBFE46C0 5C000002
	v_mfma_f32_16x16x32_fp8_fp8 v[152:155], a[144:145], a[16:17], v[152:155]// 000000003C58: D3F30098 1E622190
	v_mfma_f32_16x16x32_fp8_fp8 v[152:155], a[146:147], a[18:19], v[152:155]// 000000003C60: D3F30098 1E622592
	v_mfma_f32_16x16x32_fp8_fp8 v[152:155], a[148:149], a[20:21], v[152:155]// 000000003C68: D3F30098 1E622994
	v_mfma_f32_16x16x32_fp8_fp8 v[152:155], a[150:151], a[22:23], v[152:155]// 000000003C70: D3F30098 1E622D96
	ds_read_b128 a[96:99], v2 offset:18560                     // 000000003C78: DBFE4880 60000002
	ds_read_b128 a[100:103], v2 offset:18624                   // 000000003C80: DBFE48C0 64000002
	v_mfma_f32_16x16x32_fp8_fp8 v[184:187], a[152:153], a[16:17], v[184:187]// 000000003C88: D3F300B8 1EE22198
	v_mfma_f32_16x16x32_fp8_fp8 v[184:187], a[154:155], a[18:19], v[184:187]// 000000003C90: D3F300B8 1EE2259A
	v_mfma_f32_16x16x32_fp8_fp8 v[184:187], a[156:157], a[20:21], v[184:187]// 000000003C98: D3F300B8 1EE2299C
	v_mfma_f32_16x16x32_fp8_fp8 v[184:187], a[158:159], a[22:23], v[184:187]// 000000003CA0: D3F300B8 1EE22D9E
	ds_read_b128 a[104:107], v2 offset:19072                   // 000000003CA8: DBFE4A80 68000002
	ds_read_b128 a[108:111], v2 offset:19136                   // 000000003CB0: DBFE4AC0 6C000002
	v_mfma_f32_16x16x32_fp8_fp8 v[156:159], a[144:145], a[24:25], v[156:159]// 000000003CB8: D3F3009C 1E723190
	v_mfma_f32_16x16x32_fp8_fp8 v[156:159], a[146:147], a[26:27], v[156:159]// 000000003CC0: D3F3009C 1E723592
	v_mfma_f32_16x16x32_fp8_fp8 v[156:159], a[148:149], a[28:29], v[156:159]// 000000003CC8: D3F3009C 1E723994
	v_mfma_f32_16x16x32_fp8_fp8 v[156:159], a[150:151], a[30:31], v[156:159]// 000000003CD0: D3F3009C 1E723D96
	ds_read_b128 a[112:115], v2 offset:19584                   // 000000003CD8: DBFE4C80 70000002
	ds_read_b128 a[116:119], v2 offset:19648                   // 000000003CE0: DBFE4CC0 74000002
	v_mfma_f32_16x16x32_fp8_fp8 v[188:191], a[152:153], a[24:25], v[188:191]// 000000003CE8: D3F300BC 1EF23198
	v_mfma_f32_16x16x32_fp8_fp8 v[188:191], a[154:155], a[26:27], v[188:191]// 000000003CF0: D3F300BC 1EF2359A
	v_mfma_f32_16x16x32_fp8_fp8 v[188:191], a[156:157], a[28:29], v[188:191]// 000000003CF8: D3F300BC 1EF2399C
	v_mfma_f32_16x16x32_fp8_fp8 v[188:191], a[158:159], a[30:31], v[188:191]// 000000003D00: D3F300BC 1EF23D9E
	ds_read_b128 a[120:123], v2 offset:20096                   // 000000003D08: DBFE4E80 78000002
	ds_read_b128 a[124:127], v2 offset:20160                   // 000000003D10: DBFE4EC0 7C000002
	v_mfma_f32_16x16x32_fp8_fp8 v[160:163], a[144:145], a[32:33], v[160:163]// 000000003D18: D3F300A0 1E824190
	v_mfma_f32_16x16x32_fp8_fp8 v[160:163], a[146:147], a[34:35], v[160:163]// 000000003D20: D3F300A0 1E824592
	v_mfma_f32_16x16x32_fp8_fp8 v[160:163], a[148:149], a[36:37], v[160:163]// 000000003D28: D3F300A0 1E824994
	v_mfma_f32_16x16x32_fp8_fp8 v[160:163], a[150:151], a[38:39], v[160:163]// 000000003D30: D3F300A0 1E824D96
	v_mfma_f32_16x16x32_fp8_fp8 v[192:195], a[152:153], a[32:33], v[192:195]// 000000003D38: D3F300C0 1F024198
	v_mfma_f32_16x16x32_fp8_fp8 v[192:195], a[154:155], a[34:35], v[192:195]// 000000003D40: D3F300C0 1F02459A
	v_mfma_f32_16x16x32_fp8_fp8 v[192:195], a[156:157], a[36:37], v[192:195]// 000000003D48: D3F300C0 1F02499C
	v_mfma_f32_16x16x32_fp8_fp8 v[192:195], a[158:159], a[38:39], v[192:195]// 000000003D50: D3F300C0 1F024D9E
	v_mfma_f32_16x16x32_fp8_fp8 v[164:167], a[144:145], a[40:41], v[164:167]// 000000003D58: D3F300A4 1E925190
	v_mfma_f32_16x16x32_fp8_fp8 v[164:167], a[146:147], a[42:43], v[164:167]// 000000003D60: D3F300A4 1E925592
	v_mfma_f32_16x16x32_fp8_fp8 v[164:167], a[148:149], a[44:45], v[164:167]// 000000003D68: D3F300A4 1E925994
	v_mfma_f32_16x16x32_fp8_fp8 v[164:167], a[150:151], a[46:47], v[164:167]// 000000003D70: D3F300A4 1E925D96
	v_mfma_f32_16x16x32_fp8_fp8 v[196:199], a[152:153], a[40:41], v[196:199]// 000000003D78: D3F300C4 1F125198
	v_mfma_f32_16x16x32_fp8_fp8 v[196:199], a[154:155], a[42:43], v[196:199]// 000000003D80: D3F300C4 1F12559A
	v_mfma_f32_16x16x32_fp8_fp8 v[196:199], a[156:157], a[44:45], v[196:199]// 000000003D88: D3F300C4 1F12599C
	v_mfma_f32_16x16x32_fp8_fp8 v[196:199], a[158:159], a[46:47], v[196:199]// 000000003D90: D3F300C4 1F125D9E
	v_mfma_f32_16x16x32_fp8_fp8 v[168:171], a[144:145], a[48:49], v[168:171]// 000000003D98: D3F300A8 1EA26190
	v_mfma_f32_16x16x32_fp8_fp8 v[168:171], a[146:147], a[50:51], v[168:171]// 000000003DA0: D3F300A8 1EA26592
	v_mfma_f32_16x16x32_fp8_fp8 v[168:171], a[148:149], a[52:53], v[168:171]// 000000003DA8: D3F300A8 1EA26994
	v_mfma_f32_16x16x32_fp8_fp8 v[168:171], a[150:151], a[54:55], v[168:171]// 000000003DB0: D3F300A8 1EA26D96
	v_mfma_f32_16x16x32_fp8_fp8 v[200:203], a[152:153], a[48:49], v[200:203]// 000000003DB8: D3F300C8 1F226198
	v_mfma_f32_16x16x32_fp8_fp8 v[200:203], a[154:155], a[50:51], v[200:203]// 000000003DC0: D3F300C8 1F22659A
	v_mfma_f32_16x16x32_fp8_fp8 v[200:203], a[156:157], a[52:53], v[200:203]// 000000003DC8: D3F300C8 1F22699C
	v_mfma_f32_16x16x32_fp8_fp8 v[200:203], a[158:159], a[54:55], v[200:203]// 000000003DD0: D3F300C8 1F226D9E
	v_mfma_f32_16x16x32_fp8_fp8 v[172:175], a[144:145], a[56:57], v[172:175]// 000000003DD8: D3F300AC 1EB27190
	v_mfma_f32_16x16x32_fp8_fp8 v[172:175], a[146:147], a[58:59], v[172:175]// 000000003DE0: D3F300AC 1EB27592
	v_mfma_f32_16x16x32_fp8_fp8 v[172:175], a[148:149], a[60:61], v[172:175]// 000000003DE8: D3F300AC 1EB27994
	s_add_u32 s60, 0x180, s80                                  // 000000003DF0: 803C50FF 00000180
	s_cmp_lt_u32 s60, s81                                      // 000000003DF8: BF0A513C
	s_cselect_b32 s57, s57, 0                                  // 000000003DFC: 85398039
	v_mfma_f32_16x16x32_fp8_fp8 v[172:175], a[150:151], a[62:63], v[172:175]// 000000003E00: D3F300AC 1EB27D96
	s_add_u32 s60, 0x100, s80                                  // 000000003E08: 803C50FF 00000100
	s_cmp_lt_u32 s60, s81                                      // 000000003E10: BF0A513C
	s_cselect_b32 s58, s58, 0                                  // 000000003E14: 853A803A
	v_mfma_f32_16x16x32_fp8_fp8 v[204:207], a[152:153], a[56:57], v[204:207]// 000000003E18: D3F300CC 1F327198
	s_add_u32 s24, s58, s24                                    // 000000003E20: 8018183A
	s_addc_u32 s25, 0, s25                                     // 000000003E24: 82191980
	v_mfma_f32_16x16x32_fp8_fp8 v[204:207], a[154:155], a[58:59], v[204:207]// 000000003E28: D3F300CC 1F32759A
	s_add_u32 s20, s57, s20                                    // 000000003E30: 80141439
	s_addc_u32 s21, 0, s21                                     // 000000003E34: 82151580
	v_mfma_f32_16x16x32_fp8_fp8 v[204:207], a[156:157], a[60:61], v[204:207]// 000000003E38: D3F300CC 1F32799C
	s_add_u32 s84, s83, s84                                    // 000000003E40: 80545453
	s_addc_u32 s85, 0, s85                                     // 000000003E44: 82555580
	v_mfma_f32_16x16x32_fp8_fp8 v[204:207], a[158:159], a[62:63], v[204:207]// 000000003E48: D3F300CC 1F327D9E
	s_addk_i32 s80, 0x80                                       // 000000003E50: B7500080
	s_cmp_lt_i32 s80, s81                                      // 000000003E54: BF045150
	s_cbranch_scc0 label_06A0                                  // 000000003E58: BF840189
	s_waitcnt vmcnt(2) lgkmcnt(0)                              // 000000003E5C: BF8C0072
	s_barrier                                                  // 000000003E60: BF8A0000
	v_mfma_f32_16x16x32_fp8_fp8 v[80:83], a[128:129], a[64:65], v[80:83]// 000000003E64: D3F30050 1D428180
	v_mfma_f32_16x16x32_fp8_fp8 v[80:83], a[130:131], a[66:67], v[80:83]// 000000003E6C: D3F30050 1D428582
	buffer_load_dwordx4 a[144:147], v76, s[84:87], 0 offen     // 000000003E74: E05C1000 8095904C
	v_mfma_f32_16x16x32_fp8_fp8 v[80:83], a[132:133], a[68:69], v[80:83]// 000000003E7C: D3F30050 1D428984
	v_mfma_f32_16x16x32_fp8_fp8 v[80:83], a[134:135], a[70:71], v[80:83]// 000000003E84: D3F30050 1D428D86
	v_mfma_f32_16x16x32_fp8_fp8 v[84:87], a[128:129], a[72:73], v[84:87]// 000000003E8C: D3F30054 1D529180
	v_mfma_f32_16x16x32_fp8_fp8 v[84:87], a[130:131], a[74:75], v[84:87]// 000000003E94: D3F30054 1D529582
	buffer_load_dwordx4 a[148:151], v76, s[84:87], 0 offen offset:1024// 000000003E9C: E05C1400 8095944C
	v_mfma_f32_16x16x32_fp8_fp8 v[84:87], a[132:133], a[76:77], v[84:87]// 000000003EA4: D3F30054 1D529984
	v_mfma_f32_16x16x32_fp8_fp8 v[84:87], a[134:135], a[78:79], v[84:87]// 000000003EAC: D3F30054 1D529D86
	v_mfma_f32_16x16x32_fp8_fp8 v[88:91], a[128:129], a[80:81], v[88:91]// 000000003EB4: D3F30058 1D62A180
	v_mfma_f32_16x16x32_fp8_fp8 v[88:91], a[130:131], a[82:83], v[88:91]// 000000003EBC: D3F30058 1D62A582
	buffer_load_dwordx4 a[152:155], v77, s[84:87], 0 offen     // 000000003EC4: E05C1000 8095984D
	v_mfma_f32_16x16x32_fp8_fp8 v[88:91], a[132:133], a[84:85], v[88:91]// 000000003ECC: D3F30058 1D62A984
	v_mfma_f32_16x16x32_fp8_fp8 v[88:91], a[134:135], a[86:87], v[88:91]// 000000003ED4: D3F30058 1D62AD86
	v_mfma_f32_16x16x32_fp8_fp8 v[92:95], a[128:129], a[88:89], v[92:95]// 000000003EDC: D3F3005C 1D72B180
	v_mfma_f32_16x16x32_fp8_fp8 v[92:95], a[130:131], a[90:91], v[92:95]// 000000003EE4: D3F3005C 1D72B582
	buffer_load_dwordx4 a[156:159], v77, s[84:87], 0 offen offset:1024// 000000003EEC: E05C1400 80959C4D
	buffer_load_dword v60, s[20:23], 0 offen lds               // 000000003EF4: E0511000 8005003C
	s_add_u32 m0, 0x100, s49                                   // 000000003EFC: 807C31FF 00000100
	v_mfma_f32_16x16x32_fp8_fp8 v[92:95], a[132:133], a[92:93], v[92:95]// 000000003F04: D3F3005C 1D72B984
	v_mfma_f32_16x16x32_fp8_fp8 v[92:95], a[134:135], a[94:95], v[92:95]// 000000003F0C: D3F3005C 1D72BD86
	buffer_load_dword v61, s[20:23], 0 offen lds               // 000000003F14: E0511000 8005003D
	s_add_u32 m0, 0x200, s49                                   // 000000003F1C: 807C31FF 00000200
	v_mfma_f32_16x16x32_fp8_fp8 v[96:99], a[128:129], a[96:97], v[96:99]// 000000003F24: D3F30060 1D82C180
	v_mfma_f32_16x16x32_fp8_fp8 v[96:99], a[130:131], a[98:99], v[96:99]// 000000003F2C: D3F30060 1D82C582
	v_mfma_f32_16x16x32_fp8_fp8 v[96:99], a[132:133], a[100:101], v[96:99]// 000000003F34: D3F30060 1D82C984
	v_mfma_f32_16x16x32_fp8_fp8 v[96:99], a[134:135], a[102:103], v[96:99]// 000000003F3C: D3F30060 1D82CD86
	v_mfma_f32_16x16x32_fp8_fp8 v[100:103], a[128:129], a[104:105], v[100:103]// 000000003F44: D3F30064 1D92D180
	v_mfma_f32_16x16x32_fp8_fp8 v[100:103], a[130:131], a[106:107], v[100:103]// 000000003F4C: D3F30064 1D92D582
	buffer_load_dword v62, s[20:23], 0 offen lds               // 000000003F54: E0511000 8005003E
	s_add_u32 m0, 0x300, s49                                   // 000000003F5C: 807C31FF 00000300
	v_mfma_f32_16x16x32_fp8_fp8 v[100:103], a[132:133], a[108:109], v[100:103]// 000000003F64: D3F30064 1D92D984
	v_mfma_f32_16x16x32_fp8_fp8 v[100:103], a[134:135], a[110:111], v[100:103]// 000000003F6C: D3F30064 1D92DD86
	buffer_load_dword v63, s[20:23], 0 offen lds               // 000000003F74: E0511000 8005003F
	s_add_u32 m0, 0x400, s49                                   // 000000003F7C: 807C31FF 00000400
	v_mfma_f32_16x16x32_fp8_fp8 v[104:107], a[128:129], a[112:113], v[104:107]// 000000003F84: D3F30068 1DA2E180
	v_mfma_f32_16x16x32_fp8_fp8 v[104:107], a[130:131], a[114:115], v[104:107]// 000000003F8C: D3F30068 1DA2E582
	v_mfma_f32_16x16x32_fp8_fp8 v[104:107], a[132:133], a[116:117], v[104:107]// 000000003F94: D3F30068 1DA2E984
	v_mfma_f32_16x16x32_fp8_fp8 v[104:107], a[134:135], a[118:119], v[104:107]// 000000003F9C: D3F30068 1DA2ED86
	v_mfma_f32_16x16x32_fp8_fp8 v[108:111], a[128:129], a[120:121], v[108:111]// 000000003FA4: D3F3006C 1DB2F180
	v_mfma_f32_16x16x32_fp8_fp8 v[108:111], a[130:131], a[122:123], v[108:111]// 000000003FAC: D3F3006C 1DB2F582
	buffer_load_dword v64, s[20:23], 0 offen lds               // 000000003FB4: E0511000 80050040
	s_add_u32 m0, 0x500, s49                                   // 000000003FBC: 807C31FF 00000500
	v_mfma_f32_16x16x32_fp8_fp8 v[108:111], a[132:133], a[124:125], v[108:111]// 000000003FC4: D3F3006C 1DB2F984
	v_mfma_f32_16x16x32_fp8_fp8 v[108:111], a[134:135], a[126:127], v[108:111]// 000000003FCC: D3F3006C 1DB2FD86
	buffer_load_dword v65, s[20:23], 0 offen lds               // 000000003FD4: E0511000 80050041
	s_add_u32 m0, 0x600, s49                                   // 000000003FDC: 807C31FF 00000600
	s_waitcnt vmcnt(10)                                        // 000000003FE4: BF8C0F7A
	v_mfma_f32_16x16x32_fp8_fp8 v[112:115], a[136:137], a[64:65], v[112:115]// 000000003FE8: D3F30070 1DC28188
	v_mfma_f32_16x16x32_fp8_fp8 v[112:115], a[138:139], a[66:67], v[112:115]// 000000003FF0: D3F30070 1DC2858A
	buffer_load_dword v66, s[20:23], 0 offen lds               // 000000003FF8: E0511000 80050042
	s_add_u32 m0, 0x700, s49                                   // 000000004000: 807C31FF 00000700
	v_mfma_f32_16x16x32_fp8_fp8 v[112:115], a[140:141], a[68:69], v[112:115]// 000000004008: D3F30070 1DC2898C
	v_mfma_f32_16x16x32_fp8_fp8 v[112:115], a[142:143], a[70:71], v[112:115]// 000000004010: D3F30070 1DC28D8E
	buffer_load_dword v67, s[20:23], 0 offen lds               // 000000004018: E0511000 80050043
	s_add_u32 m0, 0x800, s49                                   // 000000004020: 807C31FF 00000800
	v_mfma_f32_16x16x32_fp8_fp8 v[116:119], a[136:137], a[72:73], v[116:119]// 000000004028: D3F30074 1DD29188
	v_mfma_f32_16x16x32_fp8_fp8 v[116:119], a[138:139], a[74:75], v[116:119]// 000000004030: D3F30074 1DD2958A
	buffer_load_dword v68, s[20:23], 0 offen lds               // 000000004038: E0511000 80050044
	s_add_u32 m0, 0x900, s49                                   // 000000004040: 807C31FF 00000900
	v_mfma_f32_16x16x32_fp8_fp8 v[116:119], a[140:141], a[76:77], v[116:119]// 000000004048: D3F30074 1DD2998C
	v_mfma_f32_16x16x32_fp8_fp8 v[116:119], a[142:143], a[78:79], v[116:119]// 000000004050: D3F30074 1DD29D8E
	buffer_load_dword v69, s[20:23], 0 offen lds               // 000000004058: E0511000 80050045
	s_add_u32 m0, 0xa00, s49                                   // 000000004060: 807C31FF 00000A00
	v_mfma_f32_16x16x32_fp8_fp8 v[120:123], a[136:137], a[80:81], v[120:123]// 000000004068: D3F30078 1DE2A188
	v_mfma_f32_16x16x32_fp8_fp8 v[120:123], a[138:139], a[82:83], v[120:123]// 000000004070: D3F30078 1DE2A58A
	buffer_load_dword v70, s[20:23], 0 offen lds               // 000000004078: E0511000 80050046
	s_add_u32 m0, 0xb00, s49                                   // 000000004080: 807C31FF 00000B00
	v_mfma_f32_16x16x32_fp8_fp8 v[120:123], a[140:141], a[84:85], v[120:123]// 000000004088: D3F30078 1DE2A98C
	v_mfma_f32_16x16x32_fp8_fp8 v[120:123], a[142:143], a[86:87], v[120:123]// 000000004090: D3F30078 1DE2AD8E
	buffer_load_dword v71, s[20:23], 0 offen lds               // 000000004098: E0511000 80050047
	s_add_u32 m0, 0xc00, s49                                   // 0000000040A0: 807C31FF 00000C00
	v_mfma_f32_16x16x32_fp8_fp8 v[124:127], a[136:137], a[88:89], v[124:127]// 0000000040A8: D3F3007C 1DF2B188
	v_mfma_f32_16x16x32_fp8_fp8 v[124:127], a[138:139], a[90:91], v[124:127]// 0000000040B0: D3F3007C 1DF2B58A
	buffer_load_dword v72, s[20:23], 0 offen lds               // 0000000040B8: E0511000 80050048
	s_add_u32 m0, 0xd00, s49                                   // 0000000040C0: 807C31FF 00000D00
	v_mfma_f32_16x16x32_fp8_fp8 v[124:127], a[140:141], a[92:93], v[124:127]// 0000000040C8: D3F3007C 1DF2B98C
	v_mfma_f32_16x16x32_fp8_fp8 v[124:127], a[142:143], a[94:95], v[124:127]// 0000000040D0: D3F3007C 1DF2BD8E
	buffer_load_dword v73, s[20:23], 0 offen lds               // 0000000040D8: E0511000 80050049
	s_add_u32 m0, 0xe00, s49                                   // 0000000040E0: 807C31FF 00000E00
	v_mfma_f32_16x16x32_fp8_fp8 v[128:131], a[136:137], a[96:97], v[128:131]// 0000000040E8: D3F30080 1E02C188
	v_mfma_f32_16x16x32_fp8_fp8 v[128:131], a[138:139], a[98:99], v[128:131]// 0000000040F0: D3F30080 1E02C58A
	v_mfma_f32_16x16x32_fp8_fp8 v[128:131], a[140:141], a[100:101], v[128:131]// 0000000040F8: D3F30080 1E02C98C
	v_mfma_f32_16x16x32_fp8_fp8 v[128:131], a[142:143], a[102:103], v[128:131]// 000000004100: D3F30080 1E02CD8E
	v_mfma_f32_16x16x32_fp8_fp8 v[132:135], a[136:137], a[104:105], v[132:135]// 000000004108: D3F30084 1E12D188
	v_mfma_f32_16x16x32_fp8_fp8 v[132:135], a[138:139], a[106:107], v[132:135]// 000000004110: D3F30084 1E12D58A
	buffer_load_dword v74, s[20:23], 0 offen lds               // 000000004118: E0511000 8005004A
	s_add_u32 m0, 0xf00, s49                                   // 000000004120: 807C31FF 00000F00
	v_mfma_f32_16x16x32_fp8_fp8 v[132:135], a[140:141], a[108:109], v[132:135]// 000000004128: D3F30084 1E12D98C
	v_mfma_f32_16x16x32_fp8_fp8 v[132:135], a[142:143], a[110:111], v[132:135]// 000000004130: D3F30084 1E12DD8E
	buffer_load_dword v75, s[20:23], 0 offen lds               // 000000004138: E0511000 8005004B
	s_add_u32 m0, 0, s48                                       // 000000004140: 807C3080
	v_mfma_f32_16x16x32_fp8_fp8 v[136:139], a[136:137], a[112:113], v[136:139]// 000000004144: D3F30088 1E22E188
	v_mfma_f32_16x16x32_fp8_fp8 v[136:139], a[138:139], a[114:115], v[136:139]// 00000000414C: D3F30088 1E22E58A
	v_mfma_f32_16x16x32_fp8_fp8 v[136:139], a[140:141], a[116:117], v[136:139]// 000000004154: D3F30088 1E22E98C
	v_mfma_f32_16x16x32_fp8_fp8 v[136:139], a[142:143], a[118:119], v[136:139]// 00000000415C: D3F30088 1E22ED8E
	v_mfma_f32_16x16x32_fp8_fp8 v[140:143], a[136:137], a[120:121], v[140:143]// 000000004164: D3F3008C 1E32F188
	v_mfma_f32_16x16x32_fp8_fp8 v[140:143], a[138:139], a[122:123], v[140:143]// 00000000416C: D3F3008C 1E32F58A
	s_add_u32 s60, 0x80, s80                                   // 000000004174: 803C50FF 00000080
	s_cmp_lt_u32 s60, s81                                      // 00000000417C: BF0A513C
	s_cselect_b32 s83, s83, 0                                  // 000000004180: 85538053
	v_mfma_f32_16x16x32_fp8_fp8 v[140:143], a[140:141], a[124:125], v[140:143]// 000000004184: D3F3008C 1E32F98C
	v_mfma_f32_16x16x32_fp8_fp8 v[140:143], a[142:143], a[126:127], v[140:143]// 00000000418C: D3F3008C 1E32FD8E
	s_waitcnt vmcnt(16)                                        // 000000004194: BF8C4F70
	v_mfma_f32_16x16x32_fp8_fp8 v[144:147], a[144:145], a[64:65], v[144:147]// 000000004198: D3F30090 1E428190
	v_mfma_f32_16x16x32_fp8_fp8 v[144:147], a[146:147], a[66:67], v[144:147]// 0000000041A0: D3F30090 1E428592
	buffer_load_dwordx4 a[128:131], v76, s[24:27], 0 offen     // 0000000041A8: E05C1000 8086804C
	v_mfma_f32_16x16x32_fp8_fp8 v[144:147], a[148:149], a[68:69], v[144:147]// 0000000041B0: D3F30090 1E428994
	v_mfma_f32_16x16x32_fp8_fp8 v[144:147], a[150:151], a[70:71], v[144:147]// 0000000041B8: D3F30090 1E428D96
	ds_read_b128 a[0:3], v2                                    // 0000000041C0: DBFE0000 00000002
	ds_read_b128 a[4:7], v2 offset:64                          // 0000000041C8: DBFE0040 04000002
	v_mfma_f32_16x16x32_fp8_fp8 v[176:179], a[152:153], a[64:65], v[176:179]// 0000000041D0: D3F300B0 1EC28198
	v_mfma_f32_16x16x32_fp8_fp8 v[176:179], a[154:155], a[66:67], v[176:179]// 0000000041D8: D3F300B0 1EC2859A
	buffer_load_dwordx4 a[132:135], v76, s[24:27], 0 offen offset:1024// 0000000041E0: E05C1400 8086844C
	v_mfma_f32_16x16x32_fp8_fp8 v[176:179], a[156:157], a[68:69], v[176:179]// 0000000041E8: D3F300B0 1EC2899C
	v_mfma_f32_16x16x32_fp8_fp8 v[176:179], a[158:159], a[70:71], v[176:179]// 0000000041F0: D3F300B0 1EC28D9E
	ds_read_b128 a[8:11], v2 offset:512                        // 0000000041F8: DBFE0200 08000002
	ds_read_b128 a[12:15], v2 offset:576                       // 000000004200: DBFE0240 0C000002
	v_mfma_f32_16x16x32_fp8_fp8 v[148:151], a[144:145], a[72:73], v[148:151]// 000000004208: D3F30094 1E529190
	v_mfma_f32_16x16x32_fp8_fp8 v[148:151], a[146:147], a[74:75], v[148:151]// 000000004210: D3F30094 1E529592
	buffer_load_dwordx4 a[136:139], v77, s[24:27], 0 offen     // 000000004218: E05C1000 8086884D
	v_mfma_f32_16x16x32_fp8_fp8 v[148:151], a[148:149], a[76:77], v[148:151]// 000000004220: D3F30094 1E529994
	v_mfma_f32_16x16x32_fp8_fp8 v[148:151], a[150:151], a[78:79], v[148:151]// 000000004228: D3F30094 1E529D96
	ds_read_b128 a[16:19], v2 offset:1024                      // 000000004230: DBFE0400 10000002
	ds_read_b128 a[20:23], v2 offset:1088                      // 000000004238: DBFE0440 14000002
	v_mfma_f32_16x16x32_fp8_fp8 v[180:183], a[152:153], a[72:73], v[180:183]// 000000004240: D3F300B4 1ED29198
	v_mfma_f32_16x16x32_fp8_fp8 v[180:183], a[154:155], a[74:75], v[180:183]// 000000004248: D3F300B4 1ED2959A
	buffer_load_dwordx4 a[140:143], v77, s[24:27], 0 offen offset:1024// 000000004250: E05C1400 80868C4D
	v_mfma_f32_16x16x32_fp8_fp8 v[180:183], a[156:157], a[76:77], v[180:183]// 000000004258: D3F300B4 1ED2999C
	v_mfma_f32_16x16x32_fp8_fp8 v[180:183], a[158:159], a[78:79], v[180:183]// 000000004260: D3F300B4 1ED29D9E
	ds_read_b128 a[24:27], v2 offset:1536                      // 000000004268: DBFE0600 18000002
	ds_read_b128 a[28:31], v2 offset:1600                      // 000000004270: DBFE0640 1C000002
	v_mfma_f32_16x16x32_fp8_fp8 v[152:155], a[144:145], a[80:81], v[152:155]// 000000004278: D3F30098 1E62A190
	v_mfma_f32_16x16x32_fp8_fp8 v[152:155], a[146:147], a[82:83], v[152:155]// 000000004280: D3F30098 1E62A592
	v_mfma_f32_16x16x32_fp8_fp8 v[152:155], a[148:149], a[84:85], v[152:155]// 000000004288: D3F30098 1E62A994
	v_mfma_f32_16x16x32_fp8_fp8 v[152:155], a[150:151], a[86:87], v[152:155]// 000000004290: D3F30098 1E62AD96
	ds_read_b128 a[32:35], v2 offset:2048                      // 000000004298: DBFE0800 20000002
	ds_read_b128 a[36:39], v2 offset:2112                      // 0000000042A0: DBFE0840 24000002
	v_mfma_f32_16x16x32_fp8_fp8 v[184:187], a[152:153], a[80:81], v[184:187]// 0000000042A8: D3F300B8 1EE2A198
	v_mfma_f32_16x16x32_fp8_fp8 v[184:187], a[154:155], a[82:83], v[184:187]// 0000000042B0: D3F300B8 1EE2A59A
	v_mfma_f32_16x16x32_fp8_fp8 v[184:187], a[156:157], a[84:85], v[184:187]// 0000000042B8: D3F300B8 1EE2A99C
	v_mfma_f32_16x16x32_fp8_fp8 v[184:187], a[158:159], a[86:87], v[184:187]// 0000000042C0: D3F300B8 1EE2AD9E
	ds_read_b128 a[40:43], v2 offset:2560                      // 0000000042C8: DBFE0A00 28000002
	ds_read_b128 a[44:47], v2 offset:2624                      // 0000000042D0: DBFE0A40 2C000002
	v_mfma_f32_16x16x32_fp8_fp8 v[156:159], a[144:145], a[88:89], v[156:159]// 0000000042D8: D3F3009C 1E72B190
	v_mfma_f32_16x16x32_fp8_fp8 v[156:159], a[146:147], a[90:91], v[156:159]// 0000000042E0: D3F3009C 1E72B592
	v_mfma_f32_16x16x32_fp8_fp8 v[156:159], a[148:149], a[92:93], v[156:159]// 0000000042E8: D3F3009C 1E72B994
	v_mfma_f32_16x16x32_fp8_fp8 v[156:159], a[150:151], a[94:95], v[156:159]// 0000000042F0: D3F3009C 1E72BD96
	ds_read_b128 a[48:51], v2 offset:3072                      // 0000000042F8: DBFE0C00 30000002
	ds_read_b128 a[52:55], v2 offset:3136                      // 000000004300: DBFE0C40 34000002
	v_mfma_f32_16x16x32_fp8_fp8 v[188:191], a[152:153], a[88:89], v[188:191]// 000000004308: D3F300BC 1EF2B198
	v_mfma_f32_16x16x32_fp8_fp8 v[188:191], a[154:155], a[90:91], v[188:191]// 000000004310: D3F300BC 1EF2B59A
	v_mfma_f32_16x16x32_fp8_fp8 v[188:191], a[156:157], a[92:93], v[188:191]// 000000004318: D3F300BC 1EF2B99C
	v_mfma_f32_16x16x32_fp8_fp8 v[188:191], a[158:159], a[94:95], v[188:191]// 000000004320: D3F300BC 1EF2BD9E
	ds_read_b128 a[56:59], v2 offset:3584                      // 000000004328: DBFE0E00 38000002
	ds_read_b128 a[60:63], v2 offset:3648                      // 000000004330: DBFE0E40 3C000002
	v_mfma_f32_16x16x32_fp8_fp8 v[160:163], a[144:145], a[96:97], v[160:163]// 000000004338: D3F300A0 1E82C190
	v_mfma_f32_16x16x32_fp8_fp8 v[160:163], a[146:147], a[98:99], v[160:163]// 000000004340: D3F300A0 1E82C592
	v_mfma_f32_16x16x32_fp8_fp8 v[160:163], a[148:149], a[100:101], v[160:163]// 000000004348: D3F300A0 1E82C994
	v_mfma_f32_16x16x32_fp8_fp8 v[160:163], a[150:151], a[102:103], v[160:163]// 000000004350: D3F300A0 1E82CD96
	v_mfma_f32_16x16x32_fp8_fp8 v[192:195], a[152:153], a[96:97], v[192:195]// 000000004358: D3F300C0 1F02C198
	v_mfma_f32_16x16x32_fp8_fp8 v[192:195], a[154:155], a[98:99], v[192:195]// 000000004360: D3F300C0 1F02C59A
	v_mfma_f32_16x16x32_fp8_fp8 v[192:195], a[156:157], a[100:101], v[192:195]// 000000004368: D3F300C0 1F02C99C
	v_mfma_f32_16x16x32_fp8_fp8 v[192:195], a[158:159], a[102:103], v[192:195]// 000000004370: D3F300C0 1F02CD9E
	v_mfma_f32_16x16x32_fp8_fp8 v[164:167], a[144:145], a[104:105], v[164:167]// 000000004378: D3F300A4 1E92D190
	v_mfma_f32_16x16x32_fp8_fp8 v[164:167], a[146:147], a[106:107], v[164:167]// 000000004380: D3F300A4 1E92D592
	v_mfma_f32_16x16x32_fp8_fp8 v[164:167], a[148:149], a[108:109], v[164:167]// 000000004388: D3F300A4 1E92D994
	v_mfma_f32_16x16x32_fp8_fp8 v[164:167], a[150:151], a[110:111], v[164:167]// 000000004390: D3F300A4 1E92DD96
	v_mfma_f32_16x16x32_fp8_fp8 v[196:199], a[152:153], a[104:105], v[196:199]// 000000004398: D3F300C4 1F12D198
	v_mfma_f32_16x16x32_fp8_fp8 v[196:199], a[154:155], a[106:107], v[196:199]// 0000000043A0: D3F300C4 1F12D59A
	v_mfma_f32_16x16x32_fp8_fp8 v[196:199], a[156:157], a[108:109], v[196:199]// 0000000043A8: D3F300C4 1F12D99C
	v_mfma_f32_16x16x32_fp8_fp8 v[196:199], a[158:159], a[110:111], v[196:199]// 0000000043B0: D3F300C4 1F12DD9E
	v_mfma_f32_16x16x32_fp8_fp8 v[168:171], a[144:145], a[112:113], v[168:171]// 0000000043B8: D3F300A8 1EA2E190
	v_mfma_f32_16x16x32_fp8_fp8 v[168:171], a[146:147], a[114:115], v[168:171]// 0000000043C0: D3F300A8 1EA2E592
	v_mfma_f32_16x16x32_fp8_fp8 v[168:171], a[148:149], a[116:117], v[168:171]// 0000000043C8: D3F300A8 1EA2E994
	v_mfma_f32_16x16x32_fp8_fp8 v[168:171], a[150:151], a[118:119], v[168:171]// 0000000043D0: D3F300A8 1EA2ED96
	v_mfma_f32_16x16x32_fp8_fp8 v[200:203], a[152:153], a[112:113], v[200:203]// 0000000043D8: D3F300C8 1F22E198
	v_mfma_f32_16x16x32_fp8_fp8 v[200:203], a[154:155], a[114:115], v[200:203]// 0000000043E0: D3F300C8 1F22E59A
	v_mfma_f32_16x16x32_fp8_fp8 v[200:203], a[156:157], a[116:117], v[200:203]// 0000000043E8: D3F300C8 1F22E99C
	v_mfma_f32_16x16x32_fp8_fp8 v[200:203], a[158:159], a[118:119], v[200:203]// 0000000043F0: D3F300C8 1F22ED9E
	v_mfma_f32_16x16x32_fp8_fp8 v[172:175], a[144:145], a[120:121], v[172:175]// 0000000043F8: D3F300AC 1EB2F190
	v_mfma_f32_16x16x32_fp8_fp8 v[172:175], a[146:147], a[122:123], v[172:175]// 000000004400: D3F300AC 1EB2F592
	v_mfma_f32_16x16x32_fp8_fp8 v[172:175], a[148:149], a[124:125], v[172:175]// 000000004408: D3F300AC 1EB2F994
	s_add_u32 s60, 0x180, s80                                  // 000000004410: 803C50FF 00000180
	s_cmp_lt_u32 s60, s81                                      // 000000004418: BF0A513C
	s_cselect_b32 s57, s57, 0                                  // 00000000441C: 85398039
	v_mfma_f32_16x16x32_fp8_fp8 v[172:175], a[150:151], a[126:127], v[172:175]// 000000004420: D3F300AC 1EB2FD96
	s_add_u32 s60, 0x100, s80                                  // 000000004428: 803C50FF 00000100
	s_cmp_lt_u32 s60, s81                                      // 000000004430: BF0A513C
	s_cselect_b32 s58, s58, 0                                  // 000000004434: 853A803A
	v_mfma_f32_16x16x32_fp8_fp8 v[204:207], a[152:153], a[120:121], v[204:207]// 000000004438: D3F300CC 1F32F198
	s_add_u32 s24, s58, s24                                    // 000000004440: 8018183A
	s_addc_u32 s25, 0, s25                                     // 000000004444: 82191980
	v_mfma_f32_16x16x32_fp8_fp8 v[204:207], a[154:155], a[122:123], v[204:207]// 000000004448: D3F300CC 1F32F59A
	s_add_u32 s20, s57, s20                                    // 000000004450: 80141439
	s_addc_u32 s21, 0, s21                                     // 000000004454: 82151580
	v_mfma_f32_16x16x32_fp8_fp8 v[204:207], a[156:157], a[124:125], v[204:207]// 000000004458: D3F300CC 1F32F99C
	s_add_u32 s84, s83, s84                                    // 000000004460: 80545453
	s_addc_u32 s85, 0, s85                                     // 000000004464: 82555580
	v_mfma_f32_16x16x32_fp8_fp8 v[204:207], a[158:159], a[126:127], v[204:207]// 000000004468: D3F300CC 1F32FD9E
	s_addk_i32 s80, 0x80                                       // 000000004470: B7500080
	s_cmp_lt_i32 s80, s81                                      // 000000004474: BF045150
	s_cbranch_scc0 label_06A0                                  // 000000004478: BF840001
	s_branch label_038F                                        // 00000000447C: BF82FCEF

0000000000004480 <label_06A0>:
	v_mul_f32_dpp v80, v24, v80 row_newbcast:0 row_mask:0xf bank_mask:0xf// 000000004480: 0AA0A0FA FF015018
	v_mul_f32_dpp v81, v24, v81 row_newbcast:1 row_mask:0xf bank_mask:0xf// 000000004488: 0AA2A2FA FF015118
	v_mul_f32_dpp v82, v24, v82 row_newbcast:2 row_mask:0xf bank_mask:0xf// 000000004490: 0AA4A4FA FF015218
	v_mul_f32_dpp v83, v24, v83 row_newbcast:3 row_mask:0xf bank_mask:0xf// 000000004498: 0AA6A6FA FF015318
	v_mul_f32_dpp v84, v24, v84 row_newbcast:0 row_mask:0xf bank_mask:0xf// 0000000044A0: 0AA8A8FA FF015018
	v_mul_f32_dpp v85, v24, v85 row_newbcast:1 row_mask:0xf bank_mask:0xf// 0000000044A8: 0AAAAAFA FF015118
	v_mul_f32_dpp v86, v24, v86 row_newbcast:2 row_mask:0xf bank_mask:0xf// 0000000044B0: 0AACACFA FF015218
	v_mul_f32_dpp v87, v24, v87 row_newbcast:3 row_mask:0xf bank_mask:0xf// 0000000044B8: 0AAEAEFA FF015318
	v_mul_f32_dpp v88, v24, v88 row_newbcast:0 row_mask:0xf bank_mask:0xf// 0000000044C0: 0AB0B0FA FF015018
	v_mul_f32_dpp v89, v24, v89 row_newbcast:1 row_mask:0xf bank_mask:0xf// 0000000044C8: 0AB2B2FA FF015118
	v_mul_f32_dpp v90, v24, v90 row_newbcast:2 row_mask:0xf bank_mask:0xf// 0000000044D0: 0AB4B4FA FF015218
	v_mul_f32_dpp v91, v24, v91 row_newbcast:3 row_mask:0xf bank_mask:0xf// 0000000044D8: 0AB6B6FA FF015318
	v_mul_f32_dpp v92, v24, v92 row_newbcast:0 row_mask:0xf bank_mask:0xf// 0000000044E0: 0AB8B8FA FF015018
	v_mul_f32_dpp v93, v24, v93 row_newbcast:1 row_mask:0xf bank_mask:0xf// 0000000044E8: 0ABABAFA FF015118
	v_mul_f32_dpp v94, v24, v94 row_newbcast:2 row_mask:0xf bank_mask:0xf// 0000000044F0: 0ABCBCFA FF015218
	v_mul_f32_dpp v95, v24, v95 row_newbcast:3 row_mask:0xf bank_mask:0xf// 0000000044F8: 0ABEBEFA FF015318
	v_mul_f32_dpp v96, v24, v96 row_newbcast:0 row_mask:0xf bank_mask:0xf// 000000004500: 0AC0C0FA FF015018
	v_mul_f32_dpp v97, v24, v97 row_newbcast:1 row_mask:0xf bank_mask:0xf// 000000004508: 0AC2C2FA FF015118
	v_mul_f32_dpp v98, v24, v98 row_newbcast:2 row_mask:0xf bank_mask:0xf// 000000004510: 0AC4C4FA FF015218
	v_mul_f32_dpp v99, v24, v99 row_newbcast:3 row_mask:0xf bank_mask:0xf// 000000004518: 0AC6C6FA FF015318
	v_mul_f32_dpp v100, v24, v100 row_newbcast:0 row_mask:0xf bank_mask:0xf// 000000004520: 0AC8C8FA FF015018
	v_mul_f32_dpp v101, v24, v101 row_newbcast:1 row_mask:0xf bank_mask:0xf// 000000004528: 0ACACAFA FF015118
	v_mul_f32_dpp v102, v24, v102 row_newbcast:2 row_mask:0xf bank_mask:0xf// 000000004530: 0ACCCCFA FF015218
	v_mul_f32_dpp v103, v24, v103 row_newbcast:3 row_mask:0xf bank_mask:0xf// 000000004538: 0ACECEFA FF015318
	v_mul_f32_dpp v104, v24, v104 row_newbcast:0 row_mask:0xf bank_mask:0xf// 000000004540: 0AD0D0FA FF015018
	v_mul_f32_dpp v105, v24, v105 row_newbcast:1 row_mask:0xf bank_mask:0xf// 000000004548: 0AD2D2FA FF015118
	v_mul_f32_dpp v106, v24, v106 row_newbcast:2 row_mask:0xf bank_mask:0xf// 000000004550: 0AD4D4FA FF015218
	v_mul_f32_dpp v107, v24, v107 row_newbcast:3 row_mask:0xf bank_mask:0xf// 000000004558: 0AD6D6FA FF015318
	v_mul_f32_dpp v108, v24, v108 row_newbcast:0 row_mask:0xf bank_mask:0xf// 000000004560: 0AD8D8FA FF015018
	v_mul_f32_dpp v109, v24, v109 row_newbcast:1 row_mask:0xf bank_mask:0xf// 000000004568: 0ADADAFA FF015118
	v_mul_f32_dpp v110, v24, v110 row_newbcast:2 row_mask:0xf bank_mask:0xf// 000000004570: 0ADCDCFA FF015218
	v_mul_f32_dpp v111, v24, v111 row_newbcast:3 row_mask:0xf bank_mask:0xf// 000000004578: 0ADEDEFA FF015318
	v_mul_f32_dpp v112, v24, v112 row_newbcast:4 row_mask:0xf bank_mask:0xf// 000000004580: 0AE0E0FA FF015418
	v_mul_f32_dpp v113, v24, v113 row_newbcast:5 row_mask:0xf bank_mask:0xf// 000000004588: 0AE2E2FA FF015518
	v_mul_f32_dpp v114, v24, v114 row_newbcast:6 row_mask:0xf bank_mask:0xf// 000000004590: 0AE4E4FA FF015618
	v_mul_f32_dpp v115, v24, v115 row_newbcast:7 row_mask:0xf bank_mask:0xf// 000000004598: 0AE6E6FA FF015718
	v_mul_f32_dpp v116, v24, v116 row_newbcast:4 row_mask:0xf bank_mask:0xf// 0000000045A0: 0AE8E8FA FF015418
	v_mul_f32_dpp v117, v24, v117 row_newbcast:5 row_mask:0xf bank_mask:0xf// 0000000045A8: 0AEAEAFA FF015518
	v_mul_f32_dpp v118, v24, v118 row_newbcast:6 row_mask:0xf bank_mask:0xf// 0000000045B0: 0AECECFA FF015618
	v_mul_f32_dpp v119, v24, v119 row_newbcast:7 row_mask:0xf bank_mask:0xf// 0000000045B8: 0AEEEEFA FF015718
	v_mul_f32_dpp v120, v24, v120 row_newbcast:4 row_mask:0xf bank_mask:0xf// 0000000045C0: 0AF0F0FA FF015418
	v_mul_f32_dpp v121, v24, v121 row_newbcast:5 row_mask:0xf bank_mask:0xf// 0000000045C8: 0AF2F2FA FF015518
	v_mul_f32_dpp v122, v24, v122 row_newbcast:6 row_mask:0xf bank_mask:0xf// 0000000045D0: 0AF4F4FA FF015618
	v_mul_f32_dpp v123, v24, v123 row_newbcast:7 row_mask:0xf bank_mask:0xf// 0000000045D8: 0AF6F6FA FF015718
	v_mul_f32_dpp v124, v24, v124 row_newbcast:4 row_mask:0xf bank_mask:0xf// 0000000045E0: 0AF8F8FA FF015418
	v_mul_f32_dpp v125, v24, v125 row_newbcast:5 row_mask:0xf bank_mask:0xf// 0000000045E8: 0AFAFAFA FF015518
	v_mul_f32_dpp v126, v24, v126 row_newbcast:6 row_mask:0xf bank_mask:0xf// 0000000045F0: 0AFCFCFA FF015618
	v_mul_f32_dpp v127, v24, v127 row_newbcast:7 row_mask:0xf bank_mask:0xf// 0000000045F8: 0AFEFEFA FF015718
	v_mul_f32_dpp v128, v24, v128 row_newbcast:4 row_mask:0xf bank_mask:0xf// 000000004600: 0B0100FA FF015418
	v_mul_f32_dpp v129, v24, v129 row_newbcast:5 row_mask:0xf bank_mask:0xf// 000000004608: 0B0302FA FF015518
	v_mul_f32_dpp v130, v24, v130 row_newbcast:6 row_mask:0xf bank_mask:0xf// 000000004610: 0B0504FA FF015618
	v_mul_f32_dpp v131, v24, v131 row_newbcast:7 row_mask:0xf bank_mask:0xf// 000000004618: 0B0706FA FF015718
	v_mul_f32_dpp v132, v24, v132 row_newbcast:4 row_mask:0xf bank_mask:0xf// 000000004620: 0B0908FA FF015418
	v_mul_f32_dpp v133, v24, v133 row_newbcast:5 row_mask:0xf bank_mask:0xf// 000000004628: 0B0B0AFA FF015518
	v_mul_f32_dpp v134, v24, v134 row_newbcast:6 row_mask:0xf bank_mask:0xf// 000000004630: 0B0D0CFA FF015618
	v_mul_f32_dpp v135, v24, v135 row_newbcast:7 row_mask:0xf bank_mask:0xf// 000000004638: 0B0F0EFA FF015718
	v_mul_f32_dpp v136, v24, v136 row_newbcast:4 row_mask:0xf bank_mask:0xf// 000000004640: 0B1110FA FF015418
	v_mul_f32_dpp v137, v24, v137 row_newbcast:5 row_mask:0xf bank_mask:0xf// 000000004648: 0B1312FA FF015518
	v_mul_f32_dpp v138, v24, v138 row_newbcast:6 row_mask:0xf bank_mask:0xf// 000000004650: 0B1514FA FF015618
	v_mul_f32_dpp v139, v24, v139 row_newbcast:7 row_mask:0xf bank_mask:0xf// 000000004658: 0B1716FA FF015718
	v_mul_f32_dpp v140, v24, v140 row_newbcast:4 row_mask:0xf bank_mask:0xf// 000000004660: 0B1918FA FF015418
	v_mul_f32_dpp v141, v24, v141 row_newbcast:5 row_mask:0xf bank_mask:0xf// 000000004668: 0B1B1AFA FF015518
	v_mul_f32_dpp v142, v24, v142 row_newbcast:6 row_mask:0xf bank_mask:0xf// 000000004670: 0B1D1CFA FF015618
	v_mul_f32_dpp v143, v24, v143 row_newbcast:7 row_mask:0xf bank_mask:0xf// 000000004678: 0B1F1EFA FF015718
	v_mul_f32_dpp v144, v26, v144 row_newbcast:0 row_mask:0xf bank_mask:0xf// 000000004680: 0B2120FA FF01501A
	v_mul_f32_dpp v145, v26, v145 row_newbcast:1 row_mask:0xf bank_mask:0xf// 000000004688: 0B2322FA FF01511A
	v_mul_f32_dpp v146, v26, v146 row_newbcast:2 row_mask:0xf bank_mask:0xf// 000000004690: 0B2524FA FF01521A
	v_mul_f32_dpp v147, v26, v147 row_newbcast:3 row_mask:0xf bank_mask:0xf// 000000004698: 0B2726FA FF01531A
	v_mul_f32_dpp v148, v26, v148 row_newbcast:0 row_mask:0xf bank_mask:0xf// 0000000046A0: 0B2928FA FF01501A
	v_mul_f32_dpp v149, v26, v149 row_newbcast:1 row_mask:0xf bank_mask:0xf// 0000000046A8: 0B2B2AFA FF01511A
	v_mul_f32_dpp v150, v26, v150 row_newbcast:2 row_mask:0xf bank_mask:0xf// 0000000046B0: 0B2D2CFA FF01521A
	v_mul_f32_dpp v151, v26, v151 row_newbcast:3 row_mask:0xf bank_mask:0xf// 0000000046B8: 0B2F2EFA FF01531A
	v_mul_f32_dpp v152, v26, v152 row_newbcast:0 row_mask:0xf bank_mask:0xf// 0000000046C0: 0B3130FA FF01501A
	v_mul_f32_dpp v153, v26, v153 row_newbcast:1 row_mask:0xf bank_mask:0xf// 0000000046C8: 0B3332FA FF01511A
	v_mul_f32_dpp v154, v26, v154 row_newbcast:2 row_mask:0xf bank_mask:0xf// 0000000046D0: 0B3534FA FF01521A
	v_mul_f32_dpp v155, v26, v155 row_newbcast:3 row_mask:0xf bank_mask:0xf// 0000000046D8: 0B3736FA FF01531A
	v_mul_f32_dpp v156, v26, v156 row_newbcast:0 row_mask:0xf bank_mask:0xf// 0000000046E0: 0B3938FA FF01501A
	v_mul_f32_dpp v157, v26, v157 row_newbcast:1 row_mask:0xf bank_mask:0xf// 0000000046E8: 0B3B3AFA FF01511A
	v_mul_f32_dpp v158, v26, v158 row_newbcast:2 row_mask:0xf bank_mask:0xf// 0000000046F0: 0B3D3CFA FF01521A
	v_mul_f32_dpp v159, v26, v159 row_newbcast:3 row_mask:0xf bank_mask:0xf// 0000000046F8: 0B3F3EFA FF01531A
	v_mul_f32_dpp v160, v26, v160 row_newbcast:0 row_mask:0xf bank_mask:0xf// 000000004700: 0B4140FA FF01501A
	v_mul_f32_dpp v161, v26, v161 row_newbcast:1 row_mask:0xf bank_mask:0xf// 000000004708: 0B4342FA FF01511A
	v_mul_f32_dpp v162, v26, v162 row_newbcast:2 row_mask:0xf bank_mask:0xf// 000000004710: 0B4544FA FF01521A
	v_mul_f32_dpp v163, v26, v163 row_newbcast:3 row_mask:0xf bank_mask:0xf// 000000004718: 0B4746FA FF01531A
	v_mul_f32_dpp v164, v26, v164 row_newbcast:0 row_mask:0xf bank_mask:0xf// 000000004720: 0B4948FA FF01501A
	v_mul_f32_dpp v165, v26, v165 row_newbcast:1 row_mask:0xf bank_mask:0xf// 000000004728: 0B4B4AFA FF01511A
	v_mul_f32_dpp v166, v26, v166 row_newbcast:2 row_mask:0xf bank_mask:0xf// 000000004730: 0B4D4CFA FF01521A
	v_mul_f32_dpp v167, v26, v167 row_newbcast:3 row_mask:0xf bank_mask:0xf// 000000004738: 0B4F4EFA FF01531A
	v_mul_f32_dpp v168, v26, v168 row_newbcast:0 row_mask:0xf bank_mask:0xf// 000000004740: 0B5150FA FF01501A
	v_mul_f32_dpp v169, v26, v169 row_newbcast:1 row_mask:0xf bank_mask:0xf// 000000004748: 0B5352FA FF01511A
	v_mul_f32_dpp v170, v26, v170 row_newbcast:2 row_mask:0xf bank_mask:0xf// 000000004750: 0B5554FA FF01521A
	v_mul_f32_dpp v171, v26, v171 row_newbcast:3 row_mask:0xf bank_mask:0xf// 000000004758: 0B5756FA FF01531A
	v_mul_f32_dpp v172, v26, v172 row_newbcast:0 row_mask:0xf bank_mask:0xf// 000000004760: 0B5958FA FF01501A
	v_mul_f32_dpp v173, v26, v173 row_newbcast:1 row_mask:0xf bank_mask:0xf// 000000004768: 0B5B5AFA FF01511A
	v_mul_f32_dpp v174, v26, v174 row_newbcast:2 row_mask:0xf bank_mask:0xf// 000000004770: 0B5D5CFA FF01521A
	v_mul_f32_dpp v175, v26, v175 row_newbcast:3 row_mask:0xf bank_mask:0xf// 000000004778: 0B5F5EFA FF01531A
	v_mul_f32_dpp v176, v26, v176 row_newbcast:4 row_mask:0xf bank_mask:0xf// 000000004780: 0B6160FA FF01541A
	v_mul_f32_dpp v177, v26, v177 row_newbcast:5 row_mask:0xf bank_mask:0xf// 000000004788: 0B6362FA FF01551A
	v_mul_f32_dpp v178, v26, v178 row_newbcast:6 row_mask:0xf bank_mask:0xf// 000000004790: 0B6564FA FF01561A
	v_mul_f32_dpp v179, v26, v179 row_newbcast:7 row_mask:0xf bank_mask:0xf// 000000004798: 0B6766FA FF01571A
	v_mul_f32_dpp v180, v26, v180 row_newbcast:4 row_mask:0xf bank_mask:0xf// 0000000047A0: 0B6968FA FF01541A
	v_mul_f32_dpp v181, v26, v181 row_newbcast:5 row_mask:0xf bank_mask:0xf// 0000000047A8: 0B6B6AFA FF01551A
	v_mul_f32_dpp v182, v26, v182 row_newbcast:6 row_mask:0xf bank_mask:0xf// 0000000047B0: 0B6D6CFA FF01561A
	v_mul_f32_dpp v183, v26, v183 row_newbcast:7 row_mask:0xf bank_mask:0xf// 0000000047B8: 0B6F6EFA FF01571A
	v_mul_f32_dpp v184, v26, v184 row_newbcast:4 row_mask:0xf bank_mask:0xf// 0000000047C0: 0B7170FA FF01541A
	v_mul_f32_dpp v185, v26, v185 row_newbcast:5 row_mask:0xf bank_mask:0xf// 0000000047C8: 0B7372FA FF01551A
	v_mul_f32_dpp v186, v26, v186 row_newbcast:6 row_mask:0xf bank_mask:0xf// 0000000047D0: 0B7574FA FF01561A
	v_mul_f32_dpp v187, v26, v187 row_newbcast:7 row_mask:0xf bank_mask:0xf// 0000000047D8: 0B7776FA FF01571A
	v_mul_f32_dpp v188, v26, v188 row_newbcast:4 row_mask:0xf bank_mask:0xf// 0000000047E0: 0B7978FA FF01541A
	v_mul_f32_dpp v189, v26, v189 row_newbcast:5 row_mask:0xf bank_mask:0xf// 0000000047E8: 0B7B7AFA FF01551A
	v_mul_f32_dpp v190, v26, v190 row_newbcast:6 row_mask:0xf bank_mask:0xf// 0000000047F0: 0B7D7CFA FF01561A
	v_mul_f32_dpp v191, v26, v191 row_newbcast:7 row_mask:0xf bank_mask:0xf// 0000000047F8: 0B7F7EFA FF01571A
	v_mul_f32_dpp v192, v26, v192 row_newbcast:4 row_mask:0xf bank_mask:0xf// 000000004800: 0B8180FA FF01541A
	v_mul_f32_dpp v193, v26, v193 row_newbcast:5 row_mask:0xf bank_mask:0xf// 000000004808: 0B8382FA FF01551A
	v_mul_f32_dpp v194, v26, v194 row_newbcast:6 row_mask:0xf bank_mask:0xf// 000000004810: 0B8584FA FF01561A
	v_mul_f32_dpp v195, v26, v195 row_newbcast:7 row_mask:0xf bank_mask:0xf// 000000004818: 0B8786FA FF01571A
	v_mul_f32_dpp v196, v26, v196 row_newbcast:4 row_mask:0xf bank_mask:0xf// 000000004820: 0B8988FA FF01541A
	v_mul_f32_dpp v197, v26, v197 row_newbcast:5 row_mask:0xf bank_mask:0xf// 000000004828: 0B8B8AFA FF01551A
	v_mul_f32_dpp v198, v26, v198 row_newbcast:6 row_mask:0xf bank_mask:0xf// 000000004830: 0B8D8CFA FF01561A
	v_mul_f32_dpp v199, v26, v199 row_newbcast:7 row_mask:0xf bank_mask:0xf// 000000004838: 0B8F8EFA FF01571A
	v_mul_f32_dpp v200, v26, v200 row_newbcast:4 row_mask:0xf bank_mask:0xf// 000000004840: 0B9190FA FF01541A
	v_mul_f32_dpp v201, v26, v201 row_newbcast:5 row_mask:0xf bank_mask:0xf// 000000004848: 0B9392FA FF01551A
	v_mul_f32_dpp v202, v26, v202 row_newbcast:6 row_mask:0xf bank_mask:0xf// 000000004850: 0B9594FA FF01561A
	v_mul_f32_dpp v203, v26, v203 row_newbcast:7 row_mask:0xf bank_mask:0xf// 000000004858: 0B9796FA FF01571A
	v_mul_f32_dpp v204, v26, v204 row_newbcast:4 row_mask:0xf bank_mask:0xf// 000000004860: 0B9998FA FF01541A
	v_mul_f32_dpp v205, v26, v205 row_newbcast:5 row_mask:0xf bank_mask:0xf// 000000004868: 0B9B9AFA FF01551A
	v_mul_f32_dpp v206, v26, v206 row_newbcast:6 row_mask:0xf bank_mask:0xf// 000000004870: 0B9D9CFA FF01561A
	v_mul_f32_dpp v207, v26, v207 row_newbcast:7 row_mask:0xf bank_mask:0xf// 000000004878: 0B9F9EFA FF01571A
	v_mov_b32_e32 v4, v36                                      // 000000004880: 7E080324
	v_mov_b32_e32 v5, v4                                       // 000000004884: 7E0A0304
	v_pk_mul_f32 v[80:81], v[4:5], v[80:81]                    // 000000004888: D3B14050 1802A104
	v_pk_mul_f32 v[144:145], v[4:5], v[144:145]                // 000000004890: D3B14090 18032104
	v_pk_mul_f32 v[82:83], v[4:5], v[82:83]                    // 000000004898: D3B14052 1802A504
	v_pk_mul_f32 v[146:147], v[4:5], v[146:147]                // 0000000048A0: D3B14092 18032504
	v_pk_mul_f32 v[112:113], v[4:5], v[112:113]                // 0000000048A8: D3B14070 1802E104
	v_pk_mul_f32 v[176:177], v[4:5], v[176:177]                // 0000000048B0: D3B140B0 18036104
	v_pk_mul_f32 v[114:115], v[4:5], v[114:115]                // 0000000048B8: D3B14072 1802E504
	v_pk_mul_f32 v[178:179], v[4:5], v[178:179]                // 0000000048C0: D3B140B2 18036504
	v_mov_b32_e32 v4, v37                                      // 0000000048C8: 7E080325
	v_mov_b32_e32 v5, v4                                       // 0000000048CC: 7E0A0304
	v_pk_mul_f32 v[84:85], v[4:5], v[84:85]                    // 0000000048D0: D3B14054 1802A904
	v_pk_mul_f32 v[148:149], v[4:5], v[148:149]                // 0000000048D8: D3B14094 18032904
	v_pk_mul_f32 v[86:87], v[4:5], v[86:87]                    // 0000000048E0: D3B14056 1802AD04
	v_pk_mul_f32 v[150:151], v[4:5], v[150:151]                // 0000000048E8: D3B14096 18032D04
	v_pk_mul_f32 v[116:117], v[4:5], v[116:117]                // 0000000048F0: D3B14074 1802E904
	v_pk_mul_f32 v[180:181], v[4:5], v[180:181]                // 0000000048F8: D3B140B4 18036904
	v_pk_mul_f32 v[118:119], v[4:5], v[118:119]                // 000000004900: D3B14076 1802ED04
	v_pk_mul_f32 v[182:183], v[4:5], v[182:183]                // 000000004908: D3B140B6 18036D04
	v_mov_b32_e32 v4, v38                                      // 000000004910: 7E080326
	v_mov_b32_e32 v5, v4                                       // 000000004914: 7E0A0304
	v_pk_mul_f32 v[88:89], v[4:5], v[88:89]                    // 000000004918: D3B14058 1802B104
	v_pk_mul_f32 v[152:153], v[4:5], v[152:153]                // 000000004920: D3B14098 18033104
	v_pk_mul_f32 v[90:91], v[4:5], v[90:91]                    // 000000004928: D3B1405A 1802B504
	v_pk_mul_f32 v[154:155], v[4:5], v[154:155]                // 000000004930: D3B1409A 18033504
	v_pk_mul_f32 v[120:121], v[4:5], v[120:121]                // 000000004938: D3B14078 1802F104
	v_pk_mul_f32 v[184:185], v[4:5], v[184:185]                // 000000004940: D3B140B8 18037104
	v_pk_mul_f32 v[122:123], v[4:5], v[122:123]                // 000000004948: D3B1407A 1802F504
	v_pk_mul_f32 v[186:187], v[4:5], v[186:187]                // 000000004950: D3B140BA 18037504
	v_mov_b32_e32 v4, v39                                      // 000000004958: 7E080327
	v_mov_b32_e32 v5, v4                                       // 00000000495C: 7E0A0304
	v_pk_mul_f32 v[92:93], v[4:5], v[92:93]                    // 000000004960: D3B1405C 1802B904
	v_pk_mul_f32 v[156:157], v[4:5], v[156:157]                // 000000004968: D3B1409C 18033904
	v_pk_mul_f32 v[94:95], v[4:5], v[94:95]                    // 000000004970: D3B1405E 1802BD04
	v_pk_mul_f32 v[158:159], v[4:5], v[158:159]                // 000000004978: D3B1409E 18033D04
	v_pk_mul_f32 v[124:125], v[4:5], v[124:125]                // 000000004980: D3B1407C 1802F904
	v_pk_mul_f32 v[188:189], v[4:5], v[188:189]                // 000000004988: D3B140BC 18037904
	v_pk_mul_f32 v[126:127], v[4:5], v[126:127]                // 000000004990: D3B1407E 1802FD04
	v_pk_mul_f32 v[190:191], v[4:5], v[190:191]                // 000000004998: D3B140BE 18037D04
	v_mov_b32_e32 v4, v40                                      // 0000000049A0: 7E080328
	v_mov_b32_e32 v5, v4                                       // 0000000049A4: 7E0A0304
	v_pk_mul_f32 v[96:97], v[4:5], v[96:97]                    // 0000000049A8: D3B14060 1802C104
	v_pk_mul_f32 v[160:161], v[4:5], v[160:161]                // 0000000049B0: D3B140A0 18034104
	v_pk_mul_f32 v[98:99], v[4:5], v[98:99]                    // 0000000049B8: D3B14062 1802C504
	v_pk_mul_f32 v[162:163], v[4:5], v[162:163]                // 0000000049C0: D3B140A2 18034504
	v_pk_mul_f32 v[128:129], v[4:5], v[128:129]                // 0000000049C8: D3B14080 18030104
	v_pk_mul_f32 v[192:193], v[4:5], v[192:193]                // 0000000049D0: D3B140C0 18038104
	v_pk_mul_f32 v[130:131], v[4:5], v[130:131]                // 0000000049D8: D3B14082 18030504
	v_pk_mul_f32 v[194:195], v[4:5], v[194:195]                // 0000000049E0: D3B140C2 18038504
	v_mov_b32_e32 v4, v41                                      // 0000000049E8: 7E080329
	v_mov_b32_e32 v5, v4                                       // 0000000049EC: 7E0A0304
	v_pk_mul_f32 v[100:101], v[4:5], v[100:101]                // 0000000049F0: D3B14064 1802C904
	v_pk_mul_f32 v[164:165], v[4:5], v[164:165]                // 0000000049F8: D3B140A4 18034904
	v_pk_mul_f32 v[102:103], v[4:5], v[102:103]                // 000000004A00: D3B14066 1802CD04
	v_pk_mul_f32 v[166:167], v[4:5], v[166:167]                // 000000004A08: D3B140A6 18034D04
	v_pk_mul_f32 v[132:133], v[4:5], v[132:133]                // 000000004A10: D3B14084 18030904
	v_pk_mul_f32 v[196:197], v[4:5], v[196:197]                // 000000004A18: D3B140C4 18038904
	v_pk_mul_f32 v[134:135], v[4:5], v[134:135]                // 000000004A20: D3B14086 18030D04
	v_pk_mul_f32 v[198:199], v[4:5], v[198:199]                // 000000004A28: D3B140C6 18038D04
	v_mov_b32_e32 v4, v42                                      // 000000004A30: 7E08032A
	v_mov_b32_e32 v5, v4                                       // 000000004A34: 7E0A0304
	v_pk_mul_f32 v[104:105], v[4:5], v[104:105]                // 000000004A38: D3B14068 1802D104
	v_pk_mul_f32 v[168:169], v[4:5], v[168:169]                // 000000004A40: D3B140A8 18035104
	v_pk_mul_f32 v[106:107], v[4:5], v[106:107]                // 000000004A48: D3B1406A 1802D504
	v_pk_mul_f32 v[170:171], v[4:5], v[170:171]                // 000000004A50: D3B140AA 18035504
	v_pk_mul_f32 v[136:137], v[4:5], v[136:137]                // 000000004A58: D3B14088 18031104
	v_pk_mul_f32 v[200:201], v[4:5], v[200:201]                // 000000004A60: D3B140C8 18039104
	v_pk_mul_f32 v[138:139], v[4:5], v[138:139]                // 000000004A68: D3B1408A 18031504
	v_pk_mul_f32 v[202:203], v[4:5], v[202:203]                // 000000004A70: D3B140CA 18039504
	v_mov_b32_e32 v4, v43                                      // 000000004A78: 7E08032B
	v_mov_b32_e32 v5, v4                                       // 000000004A7C: 7E0A0304
	v_pk_mul_f32 v[108:109], v[4:5], v[108:109]                // 000000004A80: D3B1406C 1802D904
	v_pk_mul_f32 v[172:173], v[4:5], v[172:173]                // 000000004A88: D3B140AC 18035904
	v_pk_mul_f32 v[110:111], v[4:5], v[110:111]                // 000000004A90: D3B1406E 1802DD04
	v_pk_mul_f32 v[174:175], v[4:5], v[174:175]                // 000000004A98: D3B140AE 18035D04
	v_pk_mul_f32 v[140:141], v[4:5], v[140:141]                // 000000004AA0: D3B1408C 18031904
	v_pk_mul_f32 v[204:205], v[4:5], v[204:205]                // 000000004AA8: D3B140CC 18039904
	v_pk_mul_f32 v[142:143], v[4:5], v[142:143]                // 000000004AB0: D3B1408E 18031D04
	v_pk_mul_f32 v[206:207], v[4:5], v[206:207]                // 000000004AB8: D3B140CE 18039D04
	s_cmp_eq_u32 s88, 0                                        // 000000004AC0: BF068058
	s_cbranch_scc0 label_1193                                  // 000000004AC4: BF840961
	s_cmp_eq_u32 s89, 0                                        // 000000004AC8: BF068059
	s_cbranch_scc1 label_0AB9                                  // 000000004ACC: BF850285
	v_mov_b32_e32 v8, v1                                       // 000000004AD0: 7E100301
	v_mov_b32_e32 v9, v1                                       // 000000004AD4: 7E120301
	s_mov_b32 s60, s6                                          // 000000004AD8: BEBC0006
	s_mov_b32 s61, s6                                          // 000000004ADC: BEBD0006
	v_pk_mul_f32 v[4:5], v[80:81], v[80:81]                    // 000000004AE0: D3B14004 1802A150
	v_pk_mul_f32 v[6:7], v[82:83], v[82:83]                    // 000000004AE8: D3B14006 1802A552
	v_pk_fma_f32 v[4:5], v[4:5], s[78:79], v[8:9]              // 000000004AF0: D3B04004 1C209D04
	v_pk_fma_f32 v[6:7], v[6:7], s[78:79], v[8:9]              // 000000004AF8: D3B04006 1C209D06
	v_pk_mul_f32 v[4:5], v[4:5], v[80:81]                      // 000000004B00: D3B14004 1802A104
	v_pk_mul_f32 v[6:7], v[6:7], v[82:83]                      // 000000004B08: D3B14006 1802A506
	v_pk_mul_f32 v[4:5], v[4:5], s[60:61]                      // 000000004B10: D3B14004 18007904
	v_pk_mul_f32 v[6:7], v[6:7], s[60:61]                      // 000000004B18: D3B14006 18007906
	v_exp_f32_e32 v4, v4                                       // 000000004B20: 7E084104
	v_exp_f32_e32 v5, v5                                       // 000000004B24: 7E0A4105
	v_exp_f32_e32 v6, v6                                       // 000000004B28: 7E0C4106
	v_exp_f32_e32 v7, v7                                       // 000000004B2C: 7E0E4107
	v_add_f32_e64 v4, v4, 1.0                                  // 000000004B30: D1010004 0001E504
	v_add_f32_e64 v5, v5, 1.0                                  // 000000004B38: D1010005 0001E505
	v_add_f32_e64 v6, v6, 1.0                                  // 000000004B40: D1010006 0001E506
	v_add_f32_e64 v7, v7, 1.0                                  // 000000004B48: D1010007 0001E507
	v_rcp_f32_e32 v4, v4                                       // 000000004B50: 7E084504
	v_rcp_f32_e32 v5, v5                                       // 000000004B54: 7E0A4505
	v_rcp_f32_e32 v6, v6                                       // 000000004B58: 7E0C4506
	v_rcp_f32_e32 v7, v7                                       // 000000004B5C: 7E0E4507
	v_mul_f32_e32 v80, v80, v4                                 // 000000004B60: 0AA00950
	v_mul_f32_e32 v81, v81, v5                                 // 000000004B64: 0AA20B51
	v_mul_f32_e32 v82, v82, v6                                 // 000000004B68: 0AA40D52
	v_mul_f32_e32 v83, v83, v7                                 // 000000004B6C: 0AA60F53
	v_mul_f32_e32 v80, v80, v144                               // 000000004B70: 0AA12150
	v_mul_f32_e32 v81, v81, v145                               // 000000004B74: 0AA32351
	v_mul_f32_e32 v82, v82, v146                               // 000000004B78: 0AA52552
	v_mul_f32_e32 v83, v83, v147                               // 000000004B7C: 0AA72753
	v_pk_mul_f32 v[4:5], v[84:85], v[84:85]                    // 000000004B80: D3B14004 1802A954
	v_pk_mul_f32 v[6:7], v[86:87], v[86:87]                    // 000000004B88: D3B14006 1802AD56
	v_pk_fma_f32 v[4:5], v[4:5], s[78:79], v[8:9]              // 000000004B90: D3B04004 1C209D04
	v_pk_fma_f32 v[6:7], v[6:7], s[78:79], v[8:9]              // 000000004B98: D3B04006 1C209D06
	v_pk_mul_f32 v[4:5], v[4:5], v[84:85]                      // 000000004BA0: D3B14004 1802A904
	v_pk_mul_f32 v[6:7], v[6:7], v[86:87]                      // 000000004BA8: D3B14006 1802AD06
	v_pk_mul_f32 v[4:5], v[4:5], s[60:61]                      // 000000004BB0: D3B14004 18007904
	v_pk_mul_f32 v[6:7], v[6:7], s[60:61]                      // 000000004BB8: D3B14006 18007906
	v_exp_f32_e32 v4, v4                                       // 000000004BC0: 7E084104
	v_exp_f32_e32 v5, v5                                       // 000000004BC4: 7E0A4105
	v_exp_f32_e32 v6, v6                                       // 000000004BC8: 7E0C4106
	v_exp_f32_e32 v7, v7                                       // 000000004BCC: 7E0E4107
	v_add_f32_e64 v4, v4, 1.0                                  // 000000004BD0: D1010004 0001E504
	v_add_f32_e64 v5, v5, 1.0                                  // 000000004BD8: D1010005 0001E505
	v_add_f32_e64 v6, v6, 1.0                                  // 000000004BE0: D1010006 0001E506
	v_add_f32_e64 v7, v7, 1.0                                  // 000000004BE8: D1010007 0001E507
	v_rcp_f32_e32 v4, v4                                       // 000000004BF0: 7E084504
	v_rcp_f32_e32 v5, v5                                       // 000000004BF4: 7E0A4505
	v_rcp_f32_e32 v6, v6                                       // 000000004BF8: 7E0C4506
	v_rcp_f32_e32 v7, v7                                       // 000000004BFC: 7E0E4507
	v_mul_f32_e32 v84, v84, v4                                 // 000000004C00: 0AA80954
	v_mul_f32_e32 v85, v85, v5                                 // 000000004C04: 0AAA0B55
	v_mul_f32_e32 v86, v86, v6                                 // 000000004C08: 0AAC0D56
	v_mul_f32_e32 v87, v87, v7                                 // 000000004C0C: 0AAE0F57
	v_mul_f32_e32 v84, v84, v148                               // 000000004C10: 0AA92954
	v_mul_f32_e32 v85, v85, v149                               // 000000004C14: 0AAB2B55
	v_mul_f32_e32 v86, v86, v150                               // 000000004C18: 0AAD2D56
	v_mul_f32_e32 v87, v87, v151                               // 000000004C1C: 0AAF2F57
	v_pk_mul_f32 v[4:5], v[88:89], v[88:89]                    // 000000004C20: D3B14004 1802B158
	v_pk_mul_f32 v[6:7], v[90:91], v[90:91]                    // 000000004C28: D3B14006 1802B55A
	v_pk_fma_f32 v[4:5], v[4:5], s[78:79], v[8:9]              // 000000004C30: D3B04004 1C209D04
	v_pk_fma_f32 v[6:7], v[6:7], s[78:79], v[8:9]              // 000000004C38: D3B04006 1C209D06
	v_pk_mul_f32 v[4:5], v[4:5], v[88:89]                      // 000000004C40: D3B14004 1802B104
	v_pk_mul_f32 v[6:7], v[6:7], v[90:91]                      // 000000004C48: D3B14006 1802B506
	v_pk_mul_f32 v[4:5], v[4:5], s[60:61]                      // 000000004C50: D3B14004 18007904
	v_pk_mul_f32 v[6:7], v[6:7], s[60:61]                      // 000000004C58: D3B14006 18007906
	v_exp_f32_e32 v4, v4                                       // 000000004C60: 7E084104
	v_exp_f32_e32 v5, v5                                       // 000000004C64: 7E0A4105
	v_exp_f32_e32 v6, v6                                       // 000000004C68: 7E0C4106
	v_exp_f32_e32 v7, v7                                       // 000000004C6C: 7E0E4107
	v_add_f32_e64 v4, v4, 1.0                                  // 000000004C70: D1010004 0001E504
	v_add_f32_e64 v5, v5, 1.0                                  // 000000004C78: D1010005 0001E505
	v_add_f32_e64 v6, v6, 1.0                                  // 000000004C80: D1010006 0001E506
	v_add_f32_e64 v7, v7, 1.0                                  // 000000004C88: D1010007 0001E507
	v_rcp_f32_e32 v4, v4                                       // 000000004C90: 7E084504
	v_rcp_f32_e32 v5, v5                                       // 000000004C94: 7E0A4505
	v_rcp_f32_e32 v6, v6                                       // 000000004C98: 7E0C4506
	v_rcp_f32_e32 v7, v7                                       // 000000004C9C: 7E0E4507
	v_mul_f32_e32 v88, v88, v4                                 // 000000004CA0: 0AB00958
	v_mul_f32_e32 v89, v89, v5                                 // 000000004CA4: 0AB20B59
	v_mul_f32_e32 v90, v90, v6                                 // 000000004CA8: 0AB40D5A
	v_mul_f32_e32 v91, v91, v7                                 // 000000004CAC: 0AB60F5B
	v_mul_f32_e32 v88, v88, v152                               // 000000004CB0: 0AB13158
	v_mul_f32_e32 v89, v89, v153                               // 000000004CB4: 0AB33359
	v_mul_f32_e32 v90, v90, v154                               // 000000004CB8: 0AB5355A
	v_mul_f32_e32 v91, v91, v155                               // 000000004CBC: 0AB7375B
	v_pk_mul_f32 v[4:5], v[92:93], v[92:93]                    // 000000004CC0: D3B14004 1802B95C
	v_pk_mul_f32 v[6:7], v[94:95], v[94:95]                    // 000000004CC8: D3B14006 1802BD5E
	v_pk_fma_f32 v[4:5], v[4:5], s[78:79], v[8:9]              // 000000004CD0: D3B04004 1C209D04
	v_pk_fma_f32 v[6:7], v[6:7], s[78:79], v[8:9]              // 000000004CD8: D3B04006 1C209D06
	v_pk_mul_f32 v[4:5], v[4:5], v[92:93]                      // 000000004CE0: D3B14004 1802B904
	v_pk_mul_f32 v[6:7], v[6:7], v[94:95]                      // 000000004CE8: D3B14006 1802BD06
	v_pk_mul_f32 v[4:5], v[4:5], s[60:61]                      // 000000004CF0: D3B14004 18007904
	v_pk_mul_f32 v[6:7], v[6:7], s[60:61]                      // 000000004CF8: D3B14006 18007906
	v_exp_f32_e32 v4, v4                                       // 000000004D00: 7E084104
	v_exp_f32_e32 v5, v5                                       // 000000004D04: 7E0A4105
	v_exp_f32_e32 v6, v6                                       // 000000004D08: 7E0C4106
	v_exp_f32_e32 v7, v7                                       // 000000004D0C: 7E0E4107
	v_add_f32_e64 v4, v4, 1.0                                  // 000000004D10: D1010004 0001E504
	v_add_f32_e64 v5, v5, 1.0                                  // 000000004D18: D1010005 0001E505
	v_add_f32_e64 v6, v6, 1.0                                  // 000000004D20: D1010006 0001E506
	v_add_f32_e64 v7, v7, 1.0                                  // 000000004D28: D1010007 0001E507
	v_rcp_f32_e32 v4, v4                                       // 000000004D30: 7E084504
	v_rcp_f32_e32 v5, v5                                       // 000000004D34: 7E0A4505
	v_rcp_f32_e32 v6, v6                                       // 000000004D38: 7E0C4506
	v_rcp_f32_e32 v7, v7                                       // 000000004D3C: 7E0E4507
	v_mul_f32_e32 v92, v92, v4                                 // 000000004D40: 0AB8095C
	v_mul_f32_e32 v93, v93, v5                                 // 000000004D44: 0ABA0B5D
	v_mul_f32_e32 v94, v94, v6                                 // 000000004D48: 0ABC0D5E
	v_mul_f32_e32 v95, v95, v7                                 // 000000004D4C: 0ABE0F5F
	v_mul_f32_e32 v92, v92, v156                               // 000000004D50: 0AB9395C
	v_mul_f32_e32 v93, v93, v157                               // 000000004D54: 0ABB3B5D
	v_mul_f32_e32 v94, v94, v158                               // 000000004D58: 0ABD3D5E
	v_mul_f32_e32 v95, v95, v159                               // 000000004D5C: 0ABF3F5F
	v_pk_mul_f32 v[4:5], v[96:97], v[96:97]                    // 000000004D60: D3B14004 1802C160
	v_pk_mul_f32 v[6:7], v[98:99], v[98:99]                    // 000000004D68: D3B14006 1802C562
	v_pk_fma_f32 v[4:5], v[4:5], s[78:79], v[8:9]              // 000000004D70: D3B04004 1C209D04
	v_pk_fma_f32 v[6:7], v[6:7], s[78:79], v[8:9]              // 000000004D78: D3B04006 1C209D06
	v_pk_mul_f32 v[4:5], v[4:5], v[96:97]                      // 000000004D80: D3B14004 1802C104
	v_pk_mul_f32 v[6:7], v[6:7], v[98:99]                      // 000000004D88: D3B14006 1802C506
	v_pk_mul_f32 v[4:5], v[4:5], s[60:61]                      // 000000004D90: D3B14004 18007904
	v_pk_mul_f32 v[6:7], v[6:7], s[60:61]                      // 000000004D98: D3B14006 18007906
	v_exp_f32_e32 v4, v4                                       // 000000004DA0: 7E084104
	v_exp_f32_e32 v5, v5                                       // 000000004DA4: 7E0A4105
	v_exp_f32_e32 v6, v6                                       // 000000004DA8: 7E0C4106
	v_exp_f32_e32 v7, v7                                       // 000000004DAC: 7E0E4107
	v_add_f32_e64 v4, v4, 1.0                                  // 000000004DB0: D1010004 0001E504
	v_add_f32_e64 v5, v5, 1.0                                  // 000000004DB8: D1010005 0001E505
	v_add_f32_e64 v6, v6, 1.0                                  // 000000004DC0: D1010006 0001E506
	v_add_f32_e64 v7, v7, 1.0                                  // 000000004DC8: D1010007 0001E507
	v_rcp_f32_e32 v4, v4                                       // 000000004DD0: 7E084504
	v_rcp_f32_e32 v5, v5                                       // 000000004DD4: 7E0A4505
	v_rcp_f32_e32 v6, v6                                       // 000000004DD8: 7E0C4506
	v_rcp_f32_e32 v7, v7                                       // 000000004DDC: 7E0E4507
	v_mul_f32_e32 v96, v96, v4                                 // 000000004DE0: 0AC00960
	v_mul_f32_e32 v97, v97, v5                                 // 000000004DE4: 0AC20B61
	v_mul_f32_e32 v98, v98, v6                                 // 000000004DE8: 0AC40D62
	v_mul_f32_e32 v99, v99, v7                                 // 000000004DEC: 0AC60F63
	v_mul_f32_e32 v96, v96, v160                               // 000000004DF0: 0AC14160
	v_mul_f32_e32 v97, v97, v161                               // 000000004DF4: 0AC34361
	v_mul_f32_e32 v98, v98, v162                               // 000000004DF8: 0AC54562
	v_mul_f32_e32 v99, v99, v163                               // 000000004DFC: 0AC74763
	v_pk_mul_f32 v[4:5], v[100:101], v[100:101]                // 000000004E00: D3B14004 1802C964
	v_pk_mul_f32 v[6:7], v[102:103], v[102:103]                // 000000004E08: D3B14006 1802CD66
	v_pk_fma_f32 v[4:5], v[4:5], s[78:79], v[8:9]              // 000000004E10: D3B04004 1C209D04
	v_pk_fma_f32 v[6:7], v[6:7], s[78:79], v[8:9]              // 000000004E18: D3B04006 1C209D06
	v_pk_mul_f32 v[4:5], v[4:5], v[100:101]                    // 000000004E20: D3B14004 1802C904
	v_pk_mul_f32 v[6:7], v[6:7], v[102:103]                    // 000000004E28: D3B14006 1802CD06
	v_pk_mul_f32 v[4:5], v[4:5], s[60:61]                      // 000000004E30: D3B14004 18007904
	v_pk_mul_f32 v[6:7], v[6:7], s[60:61]                      // 000000004E38: D3B14006 18007906
	v_exp_f32_e32 v4, v4                                       // 000000004E40: 7E084104
	v_exp_f32_e32 v5, v5                                       // 000000004E44: 7E0A4105
	v_exp_f32_e32 v6, v6                                       // 000000004E48: 7E0C4106
	v_exp_f32_e32 v7, v7                                       // 000000004E4C: 7E0E4107
	v_add_f32_e64 v4, v4, 1.0                                  // 000000004E50: D1010004 0001E504
	v_add_f32_e64 v5, v5, 1.0                                  // 000000004E58: D1010005 0001E505
	v_add_f32_e64 v6, v6, 1.0                                  // 000000004E60: D1010006 0001E506
	v_add_f32_e64 v7, v7, 1.0                                  // 000000004E68: D1010007 0001E507
	v_rcp_f32_e32 v4, v4                                       // 000000004E70: 7E084504
	v_rcp_f32_e32 v5, v5                                       // 000000004E74: 7E0A4505
	v_rcp_f32_e32 v6, v6                                       // 000000004E78: 7E0C4506
	v_rcp_f32_e32 v7, v7                                       // 000000004E7C: 7E0E4507
	v_mul_f32_e32 v100, v100, v4                               // 000000004E80: 0AC80964
	v_mul_f32_e32 v101, v101, v5                               // 000000004E84: 0ACA0B65
	v_mul_f32_e32 v102, v102, v6                               // 000000004E88: 0ACC0D66
	v_mul_f32_e32 v103, v103, v7                               // 000000004E8C: 0ACE0F67
	v_mul_f32_e32 v100, v100, v164                             // 000000004E90: 0AC94964
	v_mul_f32_e32 v101, v101, v165                             // 000000004E94: 0ACB4B65
	v_mul_f32_e32 v102, v102, v166                             // 000000004E98: 0ACD4D66
	v_mul_f32_e32 v103, v103, v167                             // 000000004E9C: 0ACF4F67
	v_pk_mul_f32 v[4:5], v[104:105], v[104:105]                // 000000004EA0: D3B14004 1802D168
	v_pk_mul_f32 v[6:7], v[106:107], v[106:107]                // 000000004EA8: D3B14006 1802D56A
	v_pk_fma_f32 v[4:5], v[4:5], s[78:79], v[8:9]              // 000000004EB0: D3B04004 1C209D04
	v_pk_fma_f32 v[6:7], v[6:7], s[78:79], v[8:9]              // 000000004EB8: D3B04006 1C209D06
	v_pk_mul_f32 v[4:5], v[4:5], v[104:105]                    // 000000004EC0: D3B14004 1802D104
	v_pk_mul_f32 v[6:7], v[6:7], v[106:107]                    // 000000004EC8: D3B14006 1802D506
	v_pk_mul_f32 v[4:5], v[4:5], s[60:61]                      // 000000004ED0: D3B14004 18007904
	v_pk_mul_f32 v[6:7], v[6:7], s[60:61]                      // 000000004ED8: D3B14006 18007906
	v_exp_f32_e32 v4, v4                                       // 000000004EE0: 7E084104
	v_exp_f32_e32 v5, v5                                       // 000000004EE4: 7E0A4105
	v_exp_f32_e32 v6, v6                                       // 000000004EE8: 7E0C4106
	v_exp_f32_e32 v7, v7                                       // 000000004EEC: 7E0E4107
	v_add_f32_e64 v4, v4, 1.0                                  // 000000004EF0: D1010004 0001E504
	v_add_f32_e64 v5, v5, 1.0                                  // 000000004EF8: D1010005 0001E505
	v_add_f32_e64 v6, v6, 1.0                                  // 000000004F00: D1010006 0001E506
	v_add_f32_e64 v7, v7, 1.0                                  // 000000004F08: D1010007 0001E507
	v_rcp_f32_e32 v4, v4                                       // 000000004F10: 7E084504
	v_rcp_f32_e32 v5, v5                                       // 000000004F14: 7E0A4505
	v_rcp_f32_e32 v6, v6                                       // 000000004F18: 7E0C4506
	v_rcp_f32_e32 v7, v7                                       // 000000004F1C: 7E0E4507
	v_mul_f32_e32 v104, v104, v4                               // 000000004F20: 0AD00968
	v_mul_f32_e32 v105, v105, v5                               // 000000004F24: 0AD20B69
	v_mul_f32_e32 v106, v106, v6                               // 000000004F28: 0AD40D6A
	v_mul_f32_e32 v107, v107, v7                               // 000000004F2C: 0AD60F6B
	v_mul_f32_e32 v104, v104, v168                             // 000000004F30: 0AD15168
	v_mul_f32_e32 v105, v105, v169                             // 000000004F34: 0AD35369
	v_mul_f32_e32 v106, v106, v170                             // 000000004F38: 0AD5556A
	v_mul_f32_e32 v107, v107, v171                             // 000000004F3C: 0AD7576B
	v_pk_mul_f32 v[4:5], v[108:109], v[108:109]                // 000000004F40: D3B14004 1802D96C
	v_pk_mul_f32 v[6:7], v[110:111], v[110:111]                // 000000004F48: D3B14006 1802DD6E
	v_pk_fma_f32 v[4:5], v[4:5], s[78:79], v[8:9]              // 000000004F50: D3B04004 1C209D04
	v_pk_fma_f32 v[6:7], v[6:7], s[78:79], v[8:9]              // 000000004F58: D3B04006 1C209D06
	v_pk_mul_f32 v[4:5], v[4:5], v[108:109]                    // 000000004F60: D3B14004 1802D904
	v_pk_mul_f32 v[6:7], v[6:7], v[110:111]                    // 000000004F68: D3B14006 1802DD06
	v_pk_mul_f32 v[4:5], v[4:5], s[60:61]                      // 000000004F70: D3B14004 18007904
	v_pk_mul_f32 v[6:7], v[6:7], s[60:61]                      // 000000004F78: D3B14006 18007906
	v_exp_f32_e32 v4, v4                                       // 000000004F80: 7E084104
	v_exp_f32_e32 v5, v5                                       // 000000004F84: 7E0A4105
	v_exp_f32_e32 v6, v6                                       // 000000004F88: 7E0C4106
	v_exp_f32_e32 v7, v7                                       // 000000004F8C: 7E0E4107
	v_add_f32_e64 v4, v4, 1.0                                  // 000000004F90: D1010004 0001E504
	v_add_f32_e64 v5, v5, 1.0                                  // 000000004F98: D1010005 0001E505
	v_add_f32_e64 v6, v6, 1.0                                  // 000000004FA0: D1010006 0001E506
	v_add_f32_e64 v7, v7, 1.0                                  // 000000004FA8: D1010007 0001E507
	v_rcp_f32_e32 v4, v4                                       // 000000004FB0: 7E084504
	v_rcp_f32_e32 v5, v5                                       // 000000004FB4: 7E0A4505
	v_rcp_f32_e32 v6, v6                                       // 000000004FB8: 7E0C4506
	v_rcp_f32_e32 v7, v7                                       // 000000004FBC: 7E0E4507
	v_mul_f32_e32 v108, v108, v4                               // 000000004FC0: 0AD8096C
	v_mul_f32_e32 v109, v109, v5                               // 000000004FC4: 0ADA0B6D
	v_mul_f32_e32 v110, v110, v6                               // 000000004FC8: 0ADC0D6E
	v_mul_f32_e32 v111, v111, v7                               // 000000004FCC: 0ADE0F6F
	v_mul_f32_e32 v108, v108, v172                             // 000000004FD0: 0AD9596C
	v_mul_f32_e32 v109, v109, v173                             // 000000004FD4: 0ADB5B6D
	v_mul_f32_e32 v110, v110, v174                             // 000000004FD8: 0ADD5D6E
	v_mul_f32_e32 v111, v111, v175                             // 000000004FDC: 0ADF5F6F
	v_pk_mul_f32 v[4:5], v[112:113], v[112:113]                // 000000004FE0: D3B14004 1802E170
	v_pk_mul_f32 v[6:7], v[114:115], v[114:115]                // 000000004FE8: D3B14006 1802E572
	v_pk_fma_f32 v[4:5], v[4:5], s[78:79], v[8:9]              // 000000004FF0: D3B04004 1C209D04
	v_pk_fma_f32 v[6:7], v[6:7], s[78:79], v[8:9]              // 000000004FF8: D3B04006 1C209D06
	v_pk_mul_f32 v[4:5], v[4:5], v[112:113]                    // 000000005000: D3B14004 1802E104
	v_pk_mul_f32 v[6:7], v[6:7], v[114:115]                    // 000000005008: D3B14006 1802E506
	v_pk_mul_f32 v[4:5], v[4:5], s[60:61]                      // 000000005010: D3B14004 18007904
	v_pk_mul_f32 v[6:7], v[6:7], s[60:61]                      // 000000005018: D3B14006 18007906
	v_exp_f32_e32 v4, v4                                       // 000000005020: 7E084104
	v_exp_f32_e32 v5, v5                                       // 000000005024: 7E0A4105
	v_exp_f32_e32 v6, v6                                       // 000000005028: 7E0C4106
	v_exp_f32_e32 v7, v7                                       // 00000000502C: 7E0E4107
	v_add_f32_e64 v4, v4, 1.0                                  // 000000005030: D1010004 0001E504
	v_add_f32_e64 v5, v5, 1.0                                  // 000000005038: D1010005 0001E505
	v_add_f32_e64 v6, v6, 1.0                                  // 000000005040: D1010006 0001E506
	v_add_f32_e64 v7, v7, 1.0                                  // 000000005048: D1010007 0001E507
	v_rcp_f32_e32 v4, v4                                       // 000000005050: 7E084504
	v_rcp_f32_e32 v5, v5                                       // 000000005054: 7E0A4505
	v_rcp_f32_e32 v6, v6                                       // 000000005058: 7E0C4506
	v_rcp_f32_e32 v7, v7                                       // 00000000505C: 7E0E4507
	v_mul_f32_e32 v112, v112, v4                               // 000000005060: 0AE00970
	v_mul_f32_e32 v113, v113, v5                               // 000000005064: 0AE20B71
	v_mul_f32_e32 v114, v114, v6                               // 000000005068: 0AE40D72
	v_mul_f32_e32 v115, v115, v7                               // 00000000506C: 0AE60F73
	v_mul_f32_e32 v112, v112, v176                             // 000000005070: 0AE16170
	v_mul_f32_e32 v113, v113, v177                             // 000000005074: 0AE36371
	v_mul_f32_e32 v114, v114, v178                             // 000000005078: 0AE56572
	v_mul_f32_e32 v115, v115, v179                             // 00000000507C: 0AE76773
	v_pk_mul_f32 v[4:5], v[116:117], v[116:117]                // 000000005080: D3B14004 1802E974
	v_pk_mul_f32 v[6:7], v[118:119], v[118:119]                // 000000005088: D3B14006 1802ED76
	v_pk_fma_f32 v[4:5], v[4:5], s[78:79], v[8:9]              // 000000005090: D3B04004 1C209D04
	v_pk_fma_f32 v[6:7], v[6:7], s[78:79], v[8:9]              // 000000005098: D3B04006 1C209D06
	v_pk_mul_f32 v[4:5], v[4:5], v[116:117]                    // 0000000050A0: D3B14004 1802E904
	v_pk_mul_f32 v[6:7], v[6:7], v[118:119]                    // 0000000050A8: D3B14006 1802ED06
	v_pk_mul_f32 v[4:5], v[4:5], s[60:61]                      // 0000000050B0: D3B14004 18007904
	v_pk_mul_f32 v[6:7], v[6:7], s[60:61]                      // 0000000050B8: D3B14006 18007906
	v_exp_f32_e32 v4, v4                                       // 0000000050C0: 7E084104
	v_exp_f32_e32 v5, v5                                       // 0000000050C4: 7E0A4105
	v_exp_f32_e32 v6, v6                                       // 0000000050C8: 7E0C4106
	v_exp_f32_e32 v7, v7                                       // 0000000050CC: 7E0E4107
	v_add_f32_e64 v4, v4, 1.0                                  // 0000000050D0: D1010004 0001E504
	v_add_f32_e64 v5, v5, 1.0                                  // 0000000050D8: D1010005 0001E505
	v_add_f32_e64 v6, v6, 1.0                                  // 0000000050E0: D1010006 0001E506
	v_add_f32_e64 v7, v7, 1.0                                  // 0000000050E8: D1010007 0001E507
	v_rcp_f32_e32 v4, v4                                       // 0000000050F0: 7E084504
	v_rcp_f32_e32 v5, v5                                       // 0000000050F4: 7E0A4505
	v_rcp_f32_e32 v6, v6                                       // 0000000050F8: 7E0C4506
	v_rcp_f32_e32 v7, v7                                       // 0000000050FC: 7E0E4507
	v_mul_f32_e32 v116, v116, v4                               // 000000005100: 0AE80974
	v_mul_f32_e32 v117, v117, v5                               // 000000005104: 0AEA0B75
	v_mul_f32_e32 v118, v118, v6                               // 000000005108: 0AEC0D76
	v_mul_f32_e32 v119, v119, v7                               // 00000000510C: 0AEE0F77
	v_mul_f32_e32 v116, v116, v180                             // 000000005110: 0AE96974
	v_mul_f32_e32 v117, v117, v181                             // 000000005114: 0AEB6B75
	v_mul_f32_e32 v118, v118, v182                             // 000000005118: 0AED6D76
	v_mul_f32_e32 v119, v119, v183                             // 00000000511C: 0AEF6F77
	v_pk_mul_f32 v[4:5], v[120:121], v[120:121]                // 000000005120: D3B14004 1802F178
	v_pk_mul_f32 v[6:7], v[122:123], v[122:123]                // 000000005128: D3B14006 1802F57A
	v_pk_fma_f32 v[4:5], v[4:5], s[78:79], v[8:9]              // 000000005130: D3B04004 1C209D04
	v_pk_fma_f32 v[6:7], v[6:7], s[78:79], v[8:9]              // 000000005138: D3B04006 1C209D06
	v_pk_mul_f32 v[4:5], v[4:5], v[120:121]                    // 000000005140: D3B14004 1802F104
	v_pk_mul_f32 v[6:7], v[6:7], v[122:123]                    // 000000005148: D3B14006 1802F506
	v_pk_mul_f32 v[4:5], v[4:5], s[60:61]                      // 000000005150: D3B14004 18007904
	v_pk_mul_f32 v[6:7], v[6:7], s[60:61]                      // 000000005158: D3B14006 18007906
	v_exp_f32_e32 v4, v4                                       // 000000005160: 7E084104
	v_exp_f32_e32 v5, v5                                       // 000000005164: 7E0A4105
	v_exp_f32_e32 v6, v6                                       // 000000005168: 7E0C4106
	v_exp_f32_e32 v7, v7                                       // 00000000516C: 7E0E4107
	v_add_f32_e64 v4, v4, 1.0                                  // 000000005170: D1010004 0001E504
	v_add_f32_e64 v5, v5, 1.0                                  // 000000005178: D1010005 0001E505
	v_add_f32_e64 v6, v6, 1.0                                  // 000000005180: D1010006 0001E506
	v_add_f32_e64 v7, v7, 1.0                                  // 000000005188: D1010007 0001E507
	v_rcp_f32_e32 v4, v4                                       // 000000005190: 7E084504
	v_rcp_f32_e32 v5, v5                                       // 000000005194: 7E0A4505
	v_rcp_f32_e32 v6, v6                                       // 000000005198: 7E0C4506
	v_rcp_f32_e32 v7, v7                                       // 00000000519C: 7E0E4507
	v_mul_f32_e32 v120, v120, v4                               // 0000000051A0: 0AF00978
	v_mul_f32_e32 v121, v121, v5                               // 0000000051A4: 0AF20B79
	v_mul_f32_e32 v122, v122, v6                               // 0000000051A8: 0AF40D7A
	v_mul_f32_e32 v123, v123, v7                               // 0000000051AC: 0AF60F7B
	v_mul_f32_e32 v120, v120, v184                             // 0000000051B0: 0AF17178
	v_mul_f32_e32 v121, v121, v185                             // 0000000051B4: 0AF37379
	v_mul_f32_e32 v122, v122, v186                             // 0000000051B8: 0AF5757A
	v_mul_f32_e32 v123, v123, v187                             // 0000000051BC: 0AF7777B
	v_pk_mul_f32 v[4:5], v[124:125], v[124:125]                // 0000000051C0: D3B14004 1802F97C
	v_pk_mul_f32 v[6:7], v[126:127], v[126:127]                // 0000000051C8: D3B14006 1802FD7E
	v_pk_fma_f32 v[4:5], v[4:5], s[78:79], v[8:9]              // 0000000051D0: D3B04004 1C209D04
	v_pk_fma_f32 v[6:7], v[6:7], s[78:79], v[8:9]              // 0000000051D8: D3B04006 1C209D06
	v_pk_mul_f32 v[4:5], v[4:5], v[124:125]                    // 0000000051E0: D3B14004 1802F904
	v_pk_mul_f32 v[6:7], v[6:7], v[126:127]                    // 0000000051E8: D3B14006 1802FD06
	v_pk_mul_f32 v[4:5], v[4:5], s[60:61]                      // 0000000051F0: D3B14004 18007904
	v_pk_mul_f32 v[6:7], v[6:7], s[60:61]                      // 0000000051F8: D3B14006 18007906
	v_exp_f32_e32 v4, v4                                       // 000000005200: 7E084104
	v_exp_f32_e32 v5, v5                                       // 000000005204: 7E0A4105
	v_exp_f32_e32 v6, v6                                       // 000000005208: 7E0C4106
	v_exp_f32_e32 v7, v7                                       // 00000000520C: 7E0E4107
	v_add_f32_e64 v4, v4, 1.0                                  // 000000005210: D1010004 0001E504
	v_add_f32_e64 v5, v5, 1.0                                  // 000000005218: D1010005 0001E505
	v_add_f32_e64 v6, v6, 1.0                                  // 000000005220: D1010006 0001E506
	v_add_f32_e64 v7, v7, 1.0                                  // 000000005228: D1010007 0001E507
	v_rcp_f32_e32 v4, v4                                       // 000000005230: 7E084504
	v_rcp_f32_e32 v5, v5                                       // 000000005234: 7E0A4505
	v_rcp_f32_e32 v6, v6                                       // 000000005238: 7E0C4506
	v_rcp_f32_e32 v7, v7                                       // 00000000523C: 7E0E4507
	v_mul_f32_e32 v124, v124, v4                               // 000000005240: 0AF8097C
	v_mul_f32_e32 v125, v125, v5                               // 000000005244: 0AFA0B7D
	v_mul_f32_e32 v126, v126, v6                               // 000000005248: 0AFC0D7E
	v_mul_f32_e32 v127, v127, v7                               // 00000000524C: 0AFE0F7F
	v_mul_f32_e32 v124, v124, v188                             // 000000005250: 0AF9797C
	v_mul_f32_e32 v125, v125, v189                             // 000000005254: 0AFB7B7D
	v_mul_f32_e32 v126, v126, v190                             // 000000005258: 0AFD7D7E
	v_mul_f32_e32 v127, v127, v191                             // 00000000525C: 0AFF7F7F
	v_pk_mul_f32 v[4:5], v[128:129], v[128:129]                // 000000005260: D3B14004 18030180
	v_pk_mul_f32 v[6:7], v[130:131], v[130:131]                // 000000005268: D3B14006 18030582
	v_pk_fma_f32 v[4:5], v[4:5], s[78:79], v[8:9]              // 000000005270: D3B04004 1C209D04
	v_pk_fma_f32 v[6:7], v[6:7], s[78:79], v[8:9]              // 000000005278: D3B04006 1C209D06
	v_pk_mul_f32 v[4:5], v[4:5], v[128:129]                    // 000000005280: D3B14004 18030104
	v_pk_mul_f32 v[6:7], v[6:7], v[130:131]                    // 000000005288: D3B14006 18030506
	v_pk_mul_f32 v[4:5], v[4:5], s[60:61]                      // 000000005290: D3B14004 18007904
	v_pk_mul_f32 v[6:7], v[6:7], s[60:61]                      // 000000005298: D3B14006 18007906
	v_exp_f32_e32 v4, v4                                       // 0000000052A0: 7E084104
	v_exp_f32_e32 v5, v5                                       // 0000000052A4: 7E0A4105
	v_exp_f32_e32 v6, v6                                       // 0000000052A8: 7E0C4106
	v_exp_f32_e32 v7, v7                                       // 0000000052AC: 7E0E4107
	v_add_f32_e64 v4, v4, 1.0                                  // 0000000052B0: D1010004 0001E504
	v_add_f32_e64 v5, v5, 1.0                                  // 0000000052B8: D1010005 0001E505
	v_add_f32_e64 v6, v6, 1.0                                  // 0000000052C0: D1010006 0001E506
	v_add_f32_e64 v7, v7, 1.0                                  // 0000000052C8: D1010007 0001E507
	v_rcp_f32_e32 v4, v4                                       // 0000000052D0: 7E084504
	v_rcp_f32_e32 v5, v5                                       // 0000000052D4: 7E0A4505
	v_rcp_f32_e32 v6, v6                                       // 0000000052D8: 7E0C4506
	v_rcp_f32_e32 v7, v7                                       // 0000000052DC: 7E0E4507
	v_mul_f32_e32 v128, v128, v4                               // 0000000052E0: 0B000980
	v_mul_f32_e32 v129, v129, v5                               // 0000000052E4: 0B020B81
	v_mul_f32_e32 v130, v130, v6                               // 0000000052E8: 0B040D82
	v_mul_f32_e32 v131, v131, v7                               // 0000000052EC: 0B060F83
	v_mul_f32_e32 v128, v128, v192                             // 0000000052F0: 0B018180
	v_mul_f32_e32 v129, v129, v193                             // 0000000052F4: 0B038381
	v_mul_f32_e32 v130, v130, v194                             // 0000000052F8: 0B058582
	v_mul_f32_e32 v131, v131, v195                             // 0000000052FC: 0B078783
	v_pk_mul_f32 v[4:5], v[132:133], v[132:133]                // 000000005300: D3B14004 18030984
	v_pk_mul_f32 v[6:7], v[134:135], v[134:135]                // 000000005308: D3B14006 18030D86
	v_pk_fma_f32 v[4:5], v[4:5], s[78:79], v[8:9]              // 000000005310: D3B04004 1C209D04
	v_pk_fma_f32 v[6:7], v[6:7], s[78:79], v[8:9]              // 000000005318: D3B04006 1C209D06
	v_pk_mul_f32 v[4:5], v[4:5], v[132:133]                    // 000000005320: D3B14004 18030904
	v_pk_mul_f32 v[6:7], v[6:7], v[134:135]                    // 000000005328: D3B14006 18030D06
	v_pk_mul_f32 v[4:5], v[4:5], s[60:61]                      // 000000005330: D3B14004 18007904
	v_pk_mul_f32 v[6:7], v[6:7], s[60:61]                      // 000000005338: D3B14006 18007906
	v_exp_f32_e32 v4, v4                                       // 000000005340: 7E084104
	v_exp_f32_e32 v5, v5                                       // 000000005344: 7E0A4105
	v_exp_f32_e32 v6, v6                                       // 000000005348: 7E0C4106
	v_exp_f32_e32 v7, v7                                       // 00000000534C: 7E0E4107
	v_add_f32_e64 v4, v4, 1.0                                  // 000000005350: D1010004 0001E504
	v_add_f32_e64 v5, v5, 1.0                                  // 000000005358: D1010005 0001E505
	v_add_f32_e64 v6, v6, 1.0                                  // 000000005360: D1010006 0001E506
	v_add_f32_e64 v7, v7, 1.0                                  // 000000005368: D1010007 0001E507
	v_rcp_f32_e32 v4, v4                                       // 000000005370: 7E084504
	v_rcp_f32_e32 v5, v5                                       // 000000005374: 7E0A4505
	v_rcp_f32_e32 v6, v6                                       // 000000005378: 7E0C4506
	v_rcp_f32_e32 v7, v7                                       // 00000000537C: 7E0E4507
	v_mul_f32_e32 v132, v132, v4                               // 000000005380: 0B080984
	v_mul_f32_e32 v133, v133, v5                               // 000000005384: 0B0A0B85
	v_mul_f32_e32 v134, v134, v6                               // 000000005388: 0B0C0D86
	v_mul_f32_e32 v135, v135, v7                               // 00000000538C: 0B0E0F87
	v_mul_f32_e32 v132, v132, v196                             // 000000005390: 0B098984
	v_mul_f32_e32 v133, v133, v197                             // 000000005394: 0B0B8B85
	v_mul_f32_e32 v134, v134, v198                             // 000000005398: 0B0D8D86
	v_mul_f32_e32 v135, v135, v199                             // 00000000539C: 0B0F8F87
	v_pk_mul_f32 v[4:5], v[136:137], v[136:137]                // 0000000053A0: D3B14004 18031188
	v_pk_mul_f32 v[6:7], v[138:139], v[138:139]                // 0000000053A8: D3B14006 1803158A
	v_pk_fma_f32 v[4:5], v[4:5], s[78:79], v[8:9]              // 0000000053B0: D3B04004 1C209D04
	v_pk_fma_f32 v[6:7], v[6:7], s[78:79], v[8:9]              // 0000000053B8: D3B04006 1C209D06
	v_pk_mul_f32 v[4:5], v[4:5], v[136:137]                    // 0000000053C0: D3B14004 18031104
	v_pk_mul_f32 v[6:7], v[6:7], v[138:139]                    // 0000000053C8: D3B14006 18031506
	v_pk_mul_f32 v[4:5], v[4:5], s[60:61]                      // 0000000053D0: D3B14004 18007904
	v_pk_mul_f32 v[6:7], v[6:7], s[60:61]                      // 0000000053D8: D3B14006 18007906
	v_exp_f32_e32 v4, v4                                       // 0000000053E0: 7E084104
	v_exp_f32_e32 v5, v5                                       // 0000000053E4: 7E0A4105
	v_exp_f32_e32 v6, v6                                       // 0000000053E8: 7E0C4106
	v_exp_f32_e32 v7, v7                                       // 0000000053EC: 7E0E4107
	v_add_f32_e64 v4, v4, 1.0                                  // 0000000053F0: D1010004 0001E504
	v_add_f32_e64 v5, v5, 1.0                                  // 0000000053F8: D1010005 0001E505
	v_add_f32_e64 v6, v6, 1.0                                  // 000000005400: D1010006 0001E506
	v_add_f32_e64 v7, v7, 1.0                                  // 000000005408: D1010007 0001E507
	v_rcp_f32_e32 v4, v4                                       // 000000005410: 7E084504
	v_rcp_f32_e32 v5, v5                                       // 000000005414: 7E0A4505
	v_rcp_f32_e32 v6, v6                                       // 000000005418: 7E0C4506
	v_rcp_f32_e32 v7, v7                                       // 00000000541C: 7E0E4507
	v_mul_f32_e32 v136, v136, v4                               // 000000005420: 0B100988
	v_mul_f32_e32 v137, v137, v5                               // 000000005424: 0B120B89
	v_mul_f32_e32 v138, v138, v6                               // 000000005428: 0B140D8A
	v_mul_f32_e32 v139, v139, v7                               // 00000000542C: 0B160F8B
	v_mul_f32_e32 v136, v136, v200                             // 000000005430: 0B119188
	v_mul_f32_e32 v137, v137, v201                             // 000000005434: 0B139389
	v_mul_f32_e32 v138, v138, v202                             // 000000005438: 0B15958A
	v_mul_f32_e32 v139, v139, v203                             // 00000000543C: 0B17978B
	v_pk_mul_f32 v[4:5], v[140:141], v[140:141]                // 000000005440: D3B14004 1803198C
	v_pk_mul_f32 v[6:7], v[142:143], v[142:143]                // 000000005448: D3B14006 18031D8E
	v_pk_fma_f32 v[4:5], v[4:5], s[78:79], v[8:9]              // 000000005450: D3B04004 1C209D04
	v_pk_fma_f32 v[6:7], v[6:7], s[78:79], v[8:9]              // 000000005458: D3B04006 1C209D06
	v_pk_mul_f32 v[4:5], v[4:5], v[140:141]                    // 000000005460: D3B14004 18031904
	v_pk_mul_f32 v[6:7], v[6:7], v[142:143]                    // 000000005468: D3B14006 18031D06
	v_pk_mul_f32 v[4:5], v[4:5], s[60:61]                      // 000000005470: D3B14004 18007904
	v_pk_mul_f32 v[6:7], v[6:7], s[60:61]                      // 000000005478: D3B14006 18007906
	v_exp_f32_e32 v4, v4                                       // 000000005480: 7E084104
	v_exp_f32_e32 v5, v5                                       // 000000005484: 7E0A4105
	v_exp_f32_e32 v6, v6                                       // 000000005488: 7E0C4106
	v_exp_f32_e32 v7, v7                                       // 00000000548C: 7E0E4107
	v_add_f32_e64 v4, v4, 1.0                                  // 000000005490: D1010004 0001E504
	v_add_f32_e64 v5, v5, 1.0                                  // 000000005498: D1010005 0001E505
	v_add_f32_e64 v6, v6, 1.0                                  // 0000000054A0: D1010006 0001E506
	v_add_f32_e64 v7, v7, 1.0                                  // 0000000054A8: D1010007 0001E507
	v_rcp_f32_e32 v4, v4                                       // 0000000054B0: 7E084504
	v_rcp_f32_e32 v5, v5                                       // 0000000054B4: 7E0A4505
	v_rcp_f32_e32 v6, v6                                       // 0000000054B8: 7E0C4506
	v_rcp_f32_e32 v7, v7                                       // 0000000054BC: 7E0E4507
	v_mul_f32_e32 v140, v140, v4                               // 0000000054C0: 0B18098C
	v_mul_f32_e32 v141, v141, v5                               // 0000000054C4: 0B1A0B8D
	v_mul_f32_e32 v142, v142, v6                               // 0000000054C8: 0B1C0D8E
	v_mul_f32_e32 v143, v143, v7                               // 0000000054CC: 0B1E0F8F
	v_mul_f32_e32 v140, v140, v204                             // 0000000054D0: 0B19998C
	v_mul_f32_e32 v141, v141, v205                             // 0000000054D4: 0B1B9B8D
	v_mul_f32_e32 v142, v142, v206                             // 0000000054D8: 0B1D9D8E
	v_mul_f32_e32 v143, v143, v207                             // 0000000054DC: 0B1F9F8F
	s_branch label_0CB9                                        // 0000000054E0: BF820200

00000000000054e4 <label_0AB9>:
	v_mul_f32_e64 v4, -v80, s6                                 // 0000000054E4: D1050004 20000D50
	v_mul_f32_e64 v5, -v81, s6                                 // 0000000054EC: D1050005 20000D51
	v_mul_f32_e64 v6, -v82, s6                                 // 0000000054F4: D1050006 20000D52
	v_mul_f32_e64 v7, -v83, s6                                 // 0000000054FC: D1050007 20000D53
	v_exp_f32_e32 v4, v4                                       // 000000005504: 7E084104
	v_exp_f32_e32 v5, v5                                       // 000000005508: 7E0A4105
	v_exp_f32_e32 v6, v6                                       // 00000000550C: 7E0C4106
	v_exp_f32_e32 v7, v7                                       // 000000005510: 7E0E4107
	v_add_f32_e64 v4, v4, 1.0                                  // 000000005514: D1010004 0001E504
	v_add_f32_e64 v5, v5, 1.0                                  // 00000000551C: D1010005 0001E505
	v_add_f32_e64 v6, v6, 1.0                                  // 000000005524: D1010006 0001E506
	v_add_f32_e64 v7, v7, 1.0                                  // 00000000552C: D1010007 0001E507
	v_rcp_f32_e32 v4, v4                                       // 000000005534: 7E084504
	v_rcp_f32_e32 v5, v5                                       // 000000005538: 7E0A4505
	v_rcp_f32_e32 v6, v6                                       // 00000000553C: 7E0C4506
	v_rcp_f32_e32 v7, v7                                       // 000000005540: 7E0E4507
	v_mul_f32_e32 v80, v80, v4                                 // 000000005544: 0AA00950
	v_mul_f32_e32 v81, v81, v5                                 // 000000005548: 0AA20B51
	v_mul_f32_e32 v82, v82, v6                                 // 00000000554C: 0AA40D52
	v_mul_f32_e32 v83, v83, v7                                 // 000000005550: 0AA60F53
	v_mul_f32_e32 v80, v80, v144                               // 000000005554: 0AA12150
	v_mul_f32_e32 v81, v81, v145                               // 000000005558: 0AA32351
	v_mul_f32_e32 v82, v82, v146                               // 00000000555C: 0AA52552
	v_mul_f32_e32 v83, v83, v147                               // 000000005560: 0AA72753
	v_mul_f32_e64 v4, -v84, s6                                 // 000000005564: D1050004 20000D54
	v_mul_f32_e64 v5, -v85, s6                                 // 00000000556C: D1050005 20000D55
	v_mul_f32_e64 v6, -v86, s6                                 // 000000005574: D1050006 20000D56
	v_mul_f32_e64 v7, -v87, s6                                 // 00000000557C: D1050007 20000D57
	v_exp_f32_e32 v4, v4                                       // 000000005584: 7E084104
	v_exp_f32_e32 v5, v5                                       // 000000005588: 7E0A4105
	v_exp_f32_e32 v6, v6                                       // 00000000558C: 7E0C4106
	v_exp_f32_e32 v7, v7                                       // 000000005590: 7E0E4107
	v_add_f32_e64 v4, v4, 1.0                                  // 000000005594: D1010004 0001E504
	v_add_f32_e64 v5, v5, 1.0                                  // 00000000559C: D1010005 0001E505
	v_add_f32_e64 v6, v6, 1.0                                  // 0000000055A4: D1010006 0001E506
	v_add_f32_e64 v7, v7, 1.0                                  // 0000000055AC: D1010007 0001E507
	v_rcp_f32_e32 v4, v4                                       // 0000000055B4: 7E084504
	v_rcp_f32_e32 v5, v5                                       // 0000000055B8: 7E0A4505
	v_rcp_f32_e32 v6, v6                                       // 0000000055BC: 7E0C4506
	v_rcp_f32_e32 v7, v7                                       // 0000000055C0: 7E0E4507
	v_mul_f32_e32 v84, v84, v4                                 // 0000000055C4: 0AA80954
	v_mul_f32_e32 v85, v85, v5                                 // 0000000055C8: 0AAA0B55
	v_mul_f32_e32 v86, v86, v6                                 // 0000000055CC: 0AAC0D56
	v_mul_f32_e32 v87, v87, v7                                 // 0000000055D0: 0AAE0F57
	v_mul_f32_e32 v84, v84, v148                               // 0000000055D4: 0AA92954
	v_mul_f32_e32 v85, v85, v149                               // 0000000055D8: 0AAB2B55
	v_mul_f32_e32 v86, v86, v150                               // 0000000055DC: 0AAD2D56
	v_mul_f32_e32 v87, v87, v151                               // 0000000055E0: 0AAF2F57
	v_mul_f32_e64 v4, -v88, s6                                 // 0000000055E4: D1050004 20000D58
	v_mul_f32_e64 v5, -v89, s6                                 // 0000000055EC: D1050005 20000D59
	v_mul_f32_e64 v6, -v90, s6                                 // 0000000055F4: D1050006 20000D5A
	v_mul_f32_e64 v7, -v91, s6                                 // 0000000055FC: D1050007 20000D5B
	v_exp_f32_e32 v4, v4                                       // 000000005604: 7E084104
	v_exp_f32_e32 v5, v5                                       // 000000005608: 7E0A4105
	v_exp_f32_e32 v6, v6                                       // 00000000560C: 7E0C4106
	v_exp_f32_e32 v7, v7                                       // 000000005610: 7E0E4107
	v_add_f32_e64 v4, v4, 1.0                                  // 000000005614: D1010004 0001E504
	v_add_f32_e64 v5, v5, 1.0                                  // 00000000561C: D1010005 0001E505
	v_add_f32_e64 v6, v6, 1.0                                  // 000000005624: D1010006 0001E506
	v_add_f32_e64 v7, v7, 1.0                                  // 00000000562C: D1010007 0001E507
	v_rcp_f32_e32 v4, v4                                       // 000000005634: 7E084504
	v_rcp_f32_e32 v5, v5                                       // 000000005638: 7E0A4505
	v_rcp_f32_e32 v6, v6                                       // 00000000563C: 7E0C4506
	v_rcp_f32_e32 v7, v7                                       // 000000005640: 7E0E4507
	v_mul_f32_e32 v88, v88, v4                                 // 000000005644: 0AB00958
	v_mul_f32_e32 v89, v89, v5                                 // 000000005648: 0AB20B59
	v_mul_f32_e32 v90, v90, v6                                 // 00000000564C: 0AB40D5A
	v_mul_f32_e32 v91, v91, v7                                 // 000000005650: 0AB60F5B
	v_mul_f32_e32 v88, v88, v152                               // 000000005654: 0AB13158
	v_mul_f32_e32 v89, v89, v153                               // 000000005658: 0AB33359
	v_mul_f32_e32 v90, v90, v154                               // 00000000565C: 0AB5355A
	v_mul_f32_e32 v91, v91, v155                               // 000000005660: 0AB7375B
	v_mul_f32_e64 v4, -v92, s6                                 // 000000005664: D1050004 20000D5C
	v_mul_f32_e64 v5, -v93, s6                                 // 00000000566C: D1050005 20000D5D
	v_mul_f32_e64 v6, -v94, s6                                 // 000000005674: D1050006 20000D5E
	v_mul_f32_e64 v7, -v95, s6                                 // 00000000567C: D1050007 20000D5F
	v_exp_f32_e32 v4, v4                                       // 000000005684: 7E084104
	v_exp_f32_e32 v5, v5                                       // 000000005688: 7E0A4105
	v_exp_f32_e32 v6, v6                                       // 00000000568C: 7E0C4106
	v_exp_f32_e32 v7, v7                                       // 000000005690: 7E0E4107
	v_add_f32_e64 v4, v4, 1.0                                  // 000000005694: D1010004 0001E504
	v_add_f32_e64 v5, v5, 1.0                                  // 00000000569C: D1010005 0001E505
	v_add_f32_e64 v6, v6, 1.0                                  // 0000000056A4: D1010006 0001E506
	v_add_f32_e64 v7, v7, 1.0                                  // 0000000056AC: D1010007 0001E507
	v_rcp_f32_e32 v4, v4                                       // 0000000056B4: 7E084504
	v_rcp_f32_e32 v5, v5                                       // 0000000056B8: 7E0A4505
	v_rcp_f32_e32 v6, v6                                       // 0000000056BC: 7E0C4506
	v_rcp_f32_e32 v7, v7                                       // 0000000056C0: 7E0E4507
	v_mul_f32_e32 v92, v92, v4                                 // 0000000056C4: 0AB8095C
	v_mul_f32_e32 v93, v93, v5                                 // 0000000056C8: 0ABA0B5D
	v_mul_f32_e32 v94, v94, v6                                 // 0000000056CC: 0ABC0D5E
	v_mul_f32_e32 v95, v95, v7                                 // 0000000056D0: 0ABE0F5F
	v_mul_f32_e32 v92, v92, v156                               // 0000000056D4: 0AB9395C
	v_mul_f32_e32 v93, v93, v157                               // 0000000056D8: 0ABB3B5D
	v_mul_f32_e32 v94, v94, v158                               // 0000000056DC: 0ABD3D5E
	v_mul_f32_e32 v95, v95, v159                               // 0000000056E0: 0ABF3F5F
	v_mul_f32_e64 v4, -v96, s6                                 // 0000000056E4: D1050004 20000D60
	v_mul_f32_e64 v5, -v97, s6                                 // 0000000056EC: D1050005 20000D61
	v_mul_f32_e64 v6, -v98, s6                                 // 0000000056F4: D1050006 20000D62
	v_mul_f32_e64 v7, -v99, s6                                 // 0000000056FC: D1050007 20000D63
	v_exp_f32_e32 v4, v4                                       // 000000005704: 7E084104
	v_exp_f32_e32 v5, v5                                       // 000000005708: 7E0A4105
	v_exp_f32_e32 v6, v6                                       // 00000000570C: 7E0C4106
	v_exp_f32_e32 v7, v7                                       // 000000005710: 7E0E4107
	v_add_f32_e64 v4, v4, 1.0                                  // 000000005714: D1010004 0001E504
	v_add_f32_e64 v5, v5, 1.0                                  // 00000000571C: D1010005 0001E505
	v_add_f32_e64 v6, v6, 1.0                                  // 000000005724: D1010006 0001E506
	v_add_f32_e64 v7, v7, 1.0                                  // 00000000572C: D1010007 0001E507
	v_rcp_f32_e32 v4, v4                                       // 000000005734: 7E084504
	v_rcp_f32_e32 v5, v5                                       // 000000005738: 7E0A4505
	v_rcp_f32_e32 v6, v6                                       // 00000000573C: 7E0C4506
	v_rcp_f32_e32 v7, v7                                       // 000000005740: 7E0E4507
	v_mul_f32_e32 v96, v96, v4                                 // 000000005744: 0AC00960
	v_mul_f32_e32 v97, v97, v5                                 // 000000005748: 0AC20B61
	v_mul_f32_e32 v98, v98, v6                                 // 00000000574C: 0AC40D62
	v_mul_f32_e32 v99, v99, v7                                 // 000000005750: 0AC60F63
	v_mul_f32_e32 v96, v96, v160                               // 000000005754: 0AC14160
	v_mul_f32_e32 v97, v97, v161                               // 000000005758: 0AC34361
	v_mul_f32_e32 v98, v98, v162                               // 00000000575C: 0AC54562
	v_mul_f32_e32 v99, v99, v163                               // 000000005760: 0AC74763
	v_mul_f32_e64 v4, -v100, s6                                // 000000005764: D1050004 20000D64
	v_mul_f32_e64 v5, -v101, s6                                // 00000000576C: D1050005 20000D65
	v_mul_f32_e64 v6, -v102, s6                                // 000000005774: D1050006 20000D66
	v_mul_f32_e64 v7, -v103, s6                                // 00000000577C: D1050007 20000D67
	v_exp_f32_e32 v4, v4                                       // 000000005784: 7E084104
	v_exp_f32_e32 v5, v5                                       // 000000005788: 7E0A4105
	v_exp_f32_e32 v6, v6                                       // 00000000578C: 7E0C4106
	v_exp_f32_e32 v7, v7                                       // 000000005790: 7E0E4107
	v_add_f32_e64 v4, v4, 1.0                                  // 000000005794: D1010004 0001E504
	v_add_f32_e64 v5, v5, 1.0                                  // 00000000579C: D1010005 0001E505
	v_add_f32_e64 v6, v6, 1.0                                  // 0000000057A4: D1010006 0001E506
	v_add_f32_e64 v7, v7, 1.0                                  // 0000000057AC: D1010007 0001E507
	v_rcp_f32_e32 v4, v4                                       // 0000000057B4: 7E084504
	v_rcp_f32_e32 v5, v5                                       // 0000000057B8: 7E0A4505
	v_rcp_f32_e32 v6, v6                                       // 0000000057BC: 7E0C4506
	v_rcp_f32_e32 v7, v7                                       // 0000000057C0: 7E0E4507
	v_mul_f32_e32 v100, v100, v4                               // 0000000057C4: 0AC80964
	v_mul_f32_e32 v101, v101, v5                               // 0000000057C8: 0ACA0B65
	v_mul_f32_e32 v102, v102, v6                               // 0000000057CC: 0ACC0D66
	v_mul_f32_e32 v103, v103, v7                               // 0000000057D0: 0ACE0F67
	v_mul_f32_e32 v100, v100, v164                             // 0000000057D4: 0AC94964
	v_mul_f32_e32 v101, v101, v165                             // 0000000057D8: 0ACB4B65
	v_mul_f32_e32 v102, v102, v166                             // 0000000057DC: 0ACD4D66
	v_mul_f32_e32 v103, v103, v167                             // 0000000057E0: 0ACF4F67
	v_mul_f32_e64 v4, -v104, s6                                // 0000000057E4: D1050004 20000D68
	v_mul_f32_e64 v5, -v105, s6                                // 0000000057EC: D1050005 20000D69
	v_mul_f32_e64 v6, -v106, s6                                // 0000000057F4: D1050006 20000D6A
	v_mul_f32_e64 v7, -v107, s6                                // 0000000057FC: D1050007 20000D6B
	v_exp_f32_e32 v4, v4                                       // 000000005804: 7E084104
	v_exp_f32_e32 v5, v5                                       // 000000005808: 7E0A4105
	v_exp_f32_e32 v6, v6                                       // 00000000580C: 7E0C4106
	v_exp_f32_e32 v7, v7                                       // 000000005810: 7E0E4107
	v_add_f32_e64 v4, v4, 1.0                                  // 000000005814: D1010004 0001E504
	v_add_f32_e64 v5, v5, 1.0                                  // 00000000581C: D1010005 0001E505
	v_add_f32_e64 v6, v6, 1.0                                  // 000000005824: D1010006 0001E506
	v_add_f32_e64 v7, v7, 1.0                                  // 00000000582C: D1010007 0001E507
	v_rcp_f32_e32 v4, v4                                       // 000000005834: 7E084504
	v_rcp_f32_e32 v5, v5                                       // 000000005838: 7E0A4505
	v_rcp_f32_e32 v6, v6                                       // 00000000583C: 7E0C4506
	v_rcp_f32_e32 v7, v7                                       // 000000005840: 7E0E4507
	v_mul_f32_e32 v104, v104, v4                               // 000000005844: 0AD00968
	v_mul_f32_e32 v105, v105, v5                               // 000000005848: 0AD20B69
	v_mul_f32_e32 v106, v106, v6                               // 00000000584C: 0AD40D6A
	v_mul_f32_e32 v107, v107, v7                               // 000000005850: 0AD60F6B
	v_mul_f32_e32 v104, v104, v168                             // 000000005854: 0AD15168
	v_mul_f32_e32 v105, v105, v169                             // 000000005858: 0AD35369
	v_mul_f32_e32 v106, v106, v170                             // 00000000585C: 0AD5556A
	v_mul_f32_e32 v107, v107, v171                             // 000000005860: 0AD7576B
	v_mul_f32_e64 v4, -v108, s6                                // 000000005864: D1050004 20000D6C
	v_mul_f32_e64 v5, -v109, s6                                // 00000000586C: D1050005 20000D6D
	v_mul_f32_e64 v6, -v110, s6                                // 000000005874: D1050006 20000D6E
	v_mul_f32_e64 v7, -v111, s6                                // 00000000587C: D1050007 20000D6F
	v_exp_f32_e32 v4, v4                                       // 000000005884: 7E084104
	v_exp_f32_e32 v5, v5                                       // 000000005888: 7E0A4105
	v_exp_f32_e32 v6, v6                                       // 00000000588C: 7E0C4106
	v_exp_f32_e32 v7, v7                                       // 000000005890: 7E0E4107
	v_add_f32_e64 v4, v4, 1.0                                  // 000000005894: D1010004 0001E504
	v_add_f32_e64 v5, v5, 1.0                                  // 00000000589C: D1010005 0001E505
	v_add_f32_e64 v6, v6, 1.0                                  // 0000000058A4: D1010006 0001E506
	v_add_f32_e64 v7, v7, 1.0                                  // 0000000058AC: D1010007 0001E507
	v_rcp_f32_e32 v4, v4                                       // 0000000058B4: 7E084504
	v_rcp_f32_e32 v5, v5                                       // 0000000058B8: 7E0A4505
	v_rcp_f32_e32 v6, v6                                       // 0000000058BC: 7E0C4506
	v_rcp_f32_e32 v7, v7                                       // 0000000058C0: 7E0E4507
	v_mul_f32_e32 v108, v108, v4                               // 0000000058C4: 0AD8096C
	v_mul_f32_e32 v109, v109, v5                               // 0000000058C8: 0ADA0B6D
	v_mul_f32_e32 v110, v110, v6                               // 0000000058CC: 0ADC0D6E
	v_mul_f32_e32 v111, v111, v7                               // 0000000058D0: 0ADE0F6F
	v_mul_f32_e32 v108, v108, v172                             // 0000000058D4: 0AD9596C
	v_mul_f32_e32 v109, v109, v173                             // 0000000058D8: 0ADB5B6D
	v_mul_f32_e32 v110, v110, v174                             // 0000000058DC: 0ADD5D6E
	v_mul_f32_e32 v111, v111, v175                             // 0000000058E0: 0ADF5F6F
	v_mul_f32_e64 v4, -v112, s6                                // 0000000058E4: D1050004 20000D70
	v_mul_f32_e64 v5, -v113, s6                                // 0000000058EC: D1050005 20000D71
	v_mul_f32_e64 v6, -v114, s6                                // 0000000058F4: D1050006 20000D72
	v_mul_f32_e64 v7, -v115, s6                                // 0000000058FC: D1050007 20000D73
	v_exp_f32_e32 v4, v4                                       // 000000005904: 7E084104
	v_exp_f32_e32 v5, v5                                       // 000000005908: 7E0A4105
	v_exp_f32_e32 v6, v6                                       // 00000000590C: 7E0C4106
	v_exp_f32_e32 v7, v7                                       // 000000005910: 7E0E4107
	v_add_f32_e64 v4, v4, 1.0                                  // 000000005914: D1010004 0001E504
	v_add_f32_e64 v5, v5, 1.0                                  // 00000000591C: D1010005 0001E505
	v_add_f32_e64 v6, v6, 1.0                                  // 000000005924: D1010006 0001E506
	v_add_f32_e64 v7, v7, 1.0                                  // 00000000592C: D1010007 0001E507
	v_rcp_f32_e32 v4, v4                                       // 000000005934: 7E084504
	v_rcp_f32_e32 v5, v5                                       // 000000005938: 7E0A4505
	v_rcp_f32_e32 v6, v6                                       // 00000000593C: 7E0C4506
	v_rcp_f32_e32 v7, v7                                       // 000000005940: 7E0E4507
	v_mul_f32_e32 v112, v112, v4                               // 000000005944: 0AE00970
	v_mul_f32_e32 v113, v113, v5                               // 000000005948: 0AE20B71
	v_mul_f32_e32 v114, v114, v6                               // 00000000594C: 0AE40D72
	v_mul_f32_e32 v115, v115, v7                               // 000000005950: 0AE60F73
	v_mul_f32_e32 v112, v112, v176                             // 000000005954: 0AE16170
	v_mul_f32_e32 v113, v113, v177                             // 000000005958: 0AE36371
	v_mul_f32_e32 v114, v114, v178                             // 00000000595C: 0AE56572
	v_mul_f32_e32 v115, v115, v179                             // 000000005960: 0AE76773
	v_mul_f32_e64 v4, -v116, s6                                // 000000005964: D1050004 20000D74
	v_mul_f32_e64 v5, -v117, s6                                // 00000000596C: D1050005 20000D75
	v_mul_f32_e64 v6, -v118, s6                                // 000000005974: D1050006 20000D76
	v_mul_f32_e64 v7, -v119, s6                                // 00000000597C: D1050007 20000D77
	v_exp_f32_e32 v4, v4                                       // 000000005984: 7E084104
	v_exp_f32_e32 v5, v5                                       // 000000005988: 7E0A4105
	v_exp_f32_e32 v6, v6                                       // 00000000598C: 7E0C4106
	v_exp_f32_e32 v7, v7                                       // 000000005990: 7E0E4107
	v_add_f32_e64 v4, v4, 1.0                                  // 000000005994: D1010004 0001E504
	v_add_f32_e64 v5, v5, 1.0                                  // 00000000599C: D1010005 0001E505
	v_add_f32_e64 v6, v6, 1.0                                  // 0000000059A4: D1010006 0001E506
	v_add_f32_e64 v7, v7, 1.0                                  // 0000000059AC: D1010007 0001E507
	v_rcp_f32_e32 v4, v4                                       // 0000000059B4: 7E084504
	v_rcp_f32_e32 v5, v5                                       // 0000000059B8: 7E0A4505
	v_rcp_f32_e32 v6, v6                                       // 0000000059BC: 7E0C4506
	v_rcp_f32_e32 v7, v7                                       // 0000000059C0: 7E0E4507
	v_mul_f32_e32 v116, v116, v4                               // 0000000059C4: 0AE80974
	v_mul_f32_e32 v117, v117, v5                               // 0000000059C8: 0AEA0B75
	v_mul_f32_e32 v118, v118, v6                               // 0000000059CC: 0AEC0D76
	v_mul_f32_e32 v119, v119, v7                               // 0000000059D0: 0AEE0F77
	v_mul_f32_e32 v116, v116, v180                             // 0000000059D4: 0AE96974
	v_mul_f32_e32 v117, v117, v181                             // 0000000059D8: 0AEB6B75
	v_mul_f32_e32 v118, v118, v182                             // 0000000059DC: 0AED6D76
	v_mul_f32_e32 v119, v119, v183                             // 0000000059E0: 0AEF6F77
	v_mul_f32_e64 v4, -v120, s6                                // 0000000059E4: D1050004 20000D78
	v_mul_f32_e64 v5, -v121, s6                                // 0000000059EC: D1050005 20000D79
	v_mul_f32_e64 v6, -v122, s6                                // 0000000059F4: D1050006 20000D7A
	v_mul_f32_e64 v7, -v123, s6                                // 0000000059FC: D1050007 20000D7B
	v_exp_f32_e32 v4, v4                                       // 000000005A04: 7E084104
	v_exp_f32_e32 v5, v5                                       // 000000005A08: 7E0A4105
	v_exp_f32_e32 v6, v6                                       // 000000005A0C: 7E0C4106
	v_exp_f32_e32 v7, v7                                       // 000000005A10: 7E0E4107
	v_add_f32_e64 v4, v4, 1.0                                  // 000000005A14: D1010004 0001E504
	v_add_f32_e64 v5, v5, 1.0                                  // 000000005A1C: D1010005 0001E505
	v_add_f32_e64 v6, v6, 1.0                                  // 000000005A24: D1010006 0001E506
	v_add_f32_e64 v7, v7, 1.0                                  // 000000005A2C: D1010007 0001E507
	v_rcp_f32_e32 v4, v4                                       // 000000005A34: 7E084504
	v_rcp_f32_e32 v5, v5                                       // 000000005A38: 7E0A4505
	v_rcp_f32_e32 v6, v6                                       // 000000005A3C: 7E0C4506
	v_rcp_f32_e32 v7, v7                                       // 000000005A40: 7E0E4507
	v_mul_f32_e32 v120, v120, v4                               // 000000005A44: 0AF00978
	v_mul_f32_e32 v121, v121, v5                               // 000000005A48: 0AF20B79
	v_mul_f32_e32 v122, v122, v6                               // 000000005A4C: 0AF40D7A
	v_mul_f32_e32 v123, v123, v7                               // 000000005A50: 0AF60F7B
	v_mul_f32_e32 v120, v120, v184                             // 000000005A54: 0AF17178
	v_mul_f32_e32 v121, v121, v185                             // 000000005A58: 0AF37379
	v_mul_f32_e32 v122, v122, v186                             // 000000005A5C: 0AF5757A
	v_mul_f32_e32 v123, v123, v187                             // 000000005A60: 0AF7777B
	v_mul_f32_e64 v4, -v124, s6                                // 000000005A64: D1050004 20000D7C
	v_mul_f32_e64 v5, -v125, s6                                // 000000005A6C: D1050005 20000D7D
	v_mul_f32_e64 v6, -v126, s6                                // 000000005A74: D1050006 20000D7E
	v_mul_f32_e64 v7, -v127, s6                                // 000000005A7C: D1050007 20000D7F
	v_exp_f32_e32 v4, v4                                       // 000000005A84: 7E084104
	v_exp_f32_e32 v5, v5                                       // 000000005A88: 7E0A4105
	v_exp_f32_e32 v6, v6                                       // 000000005A8C: 7E0C4106
	v_exp_f32_e32 v7, v7                                       // 000000005A90: 7E0E4107
	v_add_f32_e64 v4, v4, 1.0                                  // 000000005A94: D1010004 0001E504
	v_add_f32_e64 v5, v5, 1.0                                  // 000000005A9C: D1010005 0001E505
	v_add_f32_e64 v6, v6, 1.0                                  // 000000005AA4: D1010006 0001E506
	v_add_f32_e64 v7, v7, 1.0                                  // 000000005AAC: D1010007 0001E507
	v_rcp_f32_e32 v4, v4                                       // 000000005AB4: 7E084504
	v_rcp_f32_e32 v5, v5                                       // 000000005AB8: 7E0A4505
	v_rcp_f32_e32 v6, v6                                       // 000000005ABC: 7E0C4506
	v_rcp_f32_e32 v7, v7                                       // 000000005AC0: 7E0E4507
	v_mul_f32_e32 v124, v124, v4                               // 000000005AC4: 0AF8097C
	v_mul_f32_e32 v125, v125, v5                               // 000000005AC8: 0AFA0B7D
	v_mul_f32_e32 v126, v126, v6                               // 000000005ACC: 0AFC0D7E
	v_mul_f32_e32 v127, v127, v7                               // 000000005AD0: 0AFE0F7F
	v_mul_f32_e32 v124, v124, v188                             // 000000005AD4: 0AF9797C
	v_mul_f32_e32 v125, v125, v189                             // 000000005AD8: 0AFB7B7D
	v_mul_f32_e32 v126, v126, v190                             // 000000005ADC: 0AFD7D7E
	v_mul_f32_e32 v127, v127, v191                             // 000000005AE0: 0AFF7F7F
	v_mul_f32_e64 v4, -v128, s6                                // 000000005AE4: D1050004 20000D80
	v_mul_f32_e64 v5, -v129, s6                                // 000000005AEC: D1050005 20000D81
	v_mul_f32_e64 v6, -v130, s6                                // 000000005AF4: D1050006 20000D82
	v_mul_f32_e64 v7, -v131, s6                                // 000000005AFC: D1050007 20000D83
	v_exp_f32_e32 v4, v4                                       // 000000005B04: 7E084104
	v_exp_f32_e32 v5, v5                                       // 000000005B08: 7E0A4105
	v_exp_f32_e32 v6, v6                                       // 000000005B0C: 7E0C4106
	v_exp_f32_e32 v7, v7                                       // 000000005B10: 7E0E4107
	v_add_f32_e64 v4, v4, 1.0                                  // 000000005B14: D1010004 0001E504
	v_add_f32_e64 v5, v5, 1.0                                  // 000000005B1C: D1010005 0001E505
	v_add_f32_e64 v6, v6, 1.0                                  // 000000005B24: D1010006 0001E506
	v_add_f32_e64 v7, v7, 1.0                                  // 000000005B2C: D1010007 0001E507
	v_rcp_f32_e32 v4, v4                                       // 000000005B34: 7E084504
	v_rcp_f32_e32 v5, v5                                       // 000000005B38: 7E0A4505
	v_rcp_f32_e32 v6, v6                                       // 000000005B3C: 7E0C4506
	v_rcp_f32_e32 v7, v7                                       // 000000005B40: 7E0E4507
	v_mul_f32_e32 v128, v128, v4                               // 000000005B44: 0B000980
	v_mul_f32_e32 v129, v129, v5                               // 000000005B48: 0B020B81
	v_mul_f32_e32 v130, v130, v6                               // 000000005B4C: 0B040D82
	v_mul_f32_e32 v131, v131, v7                               // 000000005B50: 0B060F83
	v_mul_f32_e32 v128, v128, v192                             // 000000005B54: 0B018180
	v_mul_f32_e32 v129, v129, v193                             // 000000005B58: 0B038381
	v_mul_f32_e32 v130, v130, v194                             // 000000005B5C: 0B058582
	v_mul_f32_e32 v131, v131, v195                             // 000000005B60: 0B078783
	v_mul_f32_e64 v4, -v132, s6                                // 000000005B64: D1050004 20000D84
	v_mul_f32_e64 v5, -v133, s6                                // 000000005B6C: D1050005 20000D85
	v_mul_f32_e64 v6, -v134, s6                                // 000000005B74: D1050006 20000D86
	v_mul_f32_e64 v7, -v135, s6                                // 000000005B7C: D1050007 20000D87
	v_exp_f32_e32 v4, v4                                       // 000000005B84: 7E084104
	v_exp_f32_e32 v5, v5                                       // 000000005B88: 7E0A4105
	v_exp_f32_e32 v6, v6                                       // 000000005B8C: 7E0C4106
	v_exp_f32_e32 v7, v7                                       // 000000005B90: 7E0E4107
	v_add_f32_e64 v4, v4, 1.0                                  // 000000005B94: D1010004 0001E504
	v_add_f32_e64 v5, v5, 1.0                                  // 000000005B9C: D1010005 0001E505
	v_add_f32_e64 v6, v6, 1.0                                  // 000000005BA4: D1010006 0001E506
	v_add_f32_e64 v7, v7, 1.0                                  // 000000005BAC: D1010007 0001E507
	v_rcp_f32_e32 v4, v4                                       // 000000005BB4: 7E084504
	v_rcp_f32_e32 v5, v5                                       // 000000005BB8: 7E0A4505
	v_rcp_f32_e32 v6, v6                                       // 000000005BBC: 7E0C4506
	v_rcp_f32_e32 v7, v7                                       // 000000005BC0: 7E0E4507
	v_mul_f32_e32 v132, v132, v4                               // 000000005BC4: 0B080984
	v_mul_f32_e32 v133, v133, v5                               // 000000005BC8: 0B0A0B85
	v_mul_f32_e32 v134, v134, v6                               // 000000005BCC: 0B0C0D86
	v_mul_f32_e32 v135, v135, v7                               // 000000005BD0: 0B0E0F87
	v_mul_f32_e32 v132, v132, v196                             // 000000005BD4: 0B098984
	v_mul_f32_e32 v133, v133, v197                             // 000000005BD8: 0B0B8B85
	v_mul_f32_e32 v134, v134, v198                             // 000000005BDC: 0B0D8D86
	v_mul_f32_e32 v135, v135, v199                             // 000000005BE0: 0B0F8F87
	v_mul_f32_e64 v4, -v136, s6                                // 000000005BE4: D1050004 20000D88
	v_mul_f32_e64 v5, -v137, s6                                // 000000005BEC: D1050005 20000D89
	v_mul_f32_e64 v6, -v138, s6                                // 000000005BF4: D1050006 20000D8A
	v_mul_f32_e64 v7, -v139, s6                                // 000000005BFC: D1050007 20000D8B
	v_exp_f32_e32 v4, v4                                       // 000000005C04: 7E084104
	v_exp_f32_e32 v5, v5                                       // 000000005C08: 7E0A4105
	v_exp_f32_e32 v6, v6                                       // 000000005C0C: 7E0C4106
	v_exp_f32_e32 v7, v7                                       // 000000005C10: 7E0E4107
	v_add_f32_e64 v4, v4, 1.0                                  // 000000005C14: D1010004 0001E504
	v_add_f32_e64 v5, v5, 1.0                                  // 000000005C1C: D1010005 0001E505
	v_add_f32_e64 v6, v6, 1.0                                  // 000000005C24: D1010006 0001E506
	v_add_f32_e64 v7, v7, 1.0                                  // 000000005C2C: D1010007 0001E507
	v_rcp_f32_e32 v4, v4                                       // 000000005C34: 7E084504
	v_rcp_f32_e32 v5, v5                                       // 000000005C38: 7E0A4505
	v_rcp_f32_e32 v6, v6                                       // 000000005C3C: 7E0C4506
	v_rcp_f32_e32 v7, v7                                       // 000000005C40: 7E0E4507
	v_mul_f32_e32 v136, v136, v4                               // 000000005C44: 0B100988
	v_mul_f32_e32 v137, v137, v5                               // 000000005C48: 0B120B89
	v_mul_f32_e32 v138, v138, v6                               // 000000005C4C: 0B140D8A
	v_mul_f32_e32 v139, v139, v7                               // 000000005C50: 0B160F8B
	v_mul_f32_e32 v136, v136, v200                             // 000000005C54: 0B119188
	v_mul_f32_e32 v137, v137, v201                             // 000000005C58: 0B139389
	v_mul_f32_e32 v138, v138, v202                             // 000000005C5C: 0B15958A
	v_mul_f32_e32 v139, v139, v203                             // 000000005C60: 0B17978B
	v_mul_f32_e64 v4, -v140, s6                                // 000000005C64: D1050004 20000D8C
	v_mul_f32_e64 v5, -v141, s6                                // 000000005C6C: D1050005 20000D8D
	v_mul_f32_e64 v6, -v142, s6                                // 000000005C74: D1050006 20000D8E
	v_mul_f32_e64 v7, -v143, s6                                // 000000005C7C: D1050007 20000D8F
	v_exp_f32_e32 v4, v4                                       // 000000005C84: 7E084104
	v_exp_f32_e32 v5, v5                                       // 000000005C88: 7E0A4105
	v_exp_f32_e32 v6, v6                                       // 000000005C8C: 7E0C4106
	v_exp_f32_e32 v7, v7                                       // 000000005C90: 7E0E4107
	v_add_f32_e64 v4, v4, 1.0                                  // 000000005C94: D1010004 0001E504
	v_add_f32_e64 v5, v5, 1.0                                  // 000000005C9C: D1010005 0001E505
	v_add_f32_e64 v6, v6, 1.0                                  // 000000005CA4: D1010006 0001E506
	v_add_f32_e64 v7, v7, 1.0                                  // 000000005CAC: D1010007 0001E507
	v_rcp_f32_e32 v4, v4                                       // 000000005CB4: 7E084504
	v_rcp_f32_e32 v5, v5                                       // 000000005CB8: 7E0A4505
	v_rcp_f32_e32 v6, v6                                       // 000000005CBC: 7E0C4506
	v_rcp_f32_e32 v7, v7                                       // 000000005CC0: 7E0E4507
	v_mul_f32_e32 v140, v140, v4                               // 000000005CC4: 0B18098C
	v_mul_f32_e32 v141, v141, v5                               // 000000005CC8: 0B1A0B8D
	v_mul_f32_e32 v142, v142, v6                               // 000000005CCC: 0B1C0D8E
	v_mul_f32_e32 v143, v143, v7                               // 000000005CD0: 0B1E0F8F
	v_mul_f32_e32 v140, v140, v204                             // 000000005CD4: 0B19998C
	v_mul_f32_e32 v141, v141, v205                             // 000000005CD8: 0B1B9B8D
	v_mul_f32_e32 v142, v142, v206                             // 000000005CDC: 0B1D9D8E
	v_mul_f32_e32 v143, v143, v207                             // 000000005CE0: 0B1F9F8F

0000000000005ce4 <label_0CB9>:
	v_cmp_u_f32_e64 s[46:47], v80, v80                         // 000000005CE4: D048002E 0002A150
	v_add3_u32 v16, v80, v19, 1                                // 000000005CEC: D1FF0010 02062750
	v_cndmask_b32_e64 v4, v16, v18, s[46:47]                   // 000000005CF4: D1000004 00BA2510
	v_cmp_u_f32_e64 s[46:47], v81, v81                         // 000000005CFC: D048002E 0002A351
	v_add3_u32 v16, v81, v19, 1                                // 000000005D04: D1FF0010 02062751
	v_cndmask_b32_e64 v5, v16, v18, s[46:47]                   // 000000005D0C: D1000005 00BA2510
	v_perm_b32 v80, v5, v4, s52                                // 000000005D14: D1ED0050 00D20905
	v_cmp_u_f32_e64 s[46:47], v82, v82                         // 000000005D1C: D048002E 0002A552
	v_add3_u32 v16, v82, v19, 1                                // 000000005D24: D1FF0010 02062752
	v_cndmask_b32_e64 v4, v16, v18, s[46:47]                   // 000000005D2C: D1000004 00BA2510
	v_cmp_u_f32_e64 s[46:47], v83, v83                         // 000000005D34: D048002E 0002A753
	v_add3_u32 v16, v83, v19, 1                                // 000000005D3C: D1FF0010 02062753
	v_cndmask_b32_e64 v5, v16, v18, s[46:47]                   // 000000005D44: D1000005 00BA2510
	v_perm_b32 v81, v5, v4, s52                                // 000000005D4C: D1ED0051 00D20905
	v_cmp_u_f32_e64 s[46:47], v84, v84                         // 000000005D54: D048002E 0002A954
	v_add3_u32 v16, v84, v19, 1                                // 000000005D5C: D1FF0010 02062754
	v_cndmask_b32_e64 v4, v16, v18, s[46:47]                   // 000000005D64: D1000004 00BA2510
	v_cmp_u_f32_e64 s[46:47], v85, v85                         // 000000005D6C: D048002E 0002AB55
	v_add3_u32 v16, v85, v19, 1                                // 000000005D74: D1FF0010 02062755
	v_cndmask_b32_e64 v5, v16, v18, s[46:47]                   // 000000005D7C: D1000005 00BA2510
	v_perm_b32 v82, v5, v4, s52                                // 000000005D84: D1ED0052 00D20905
	v_cmp_u_f32_e64 s[46:47], v86, v86                         // 000000005D8C: D048002E 0002AD56
	v_add3_u32 v16, v86, v19, 1                                // 000000005D94: D1FF0010 02062756
	v_cndmask_b32_e64 v4, v16, v18, s[46:47]                   // 000000005D9C: D1000004 00BA2510
	v_cmp_u_f32_e64 s[46:47], v87, v87                         // 000000005DA4: D048002E 0002AF57
	v_add3_u32 v16, v87, v19, 1                                // 000000005DAC: D1FF0010 02062757
	v_cndmask_b32_e64 v5, v16, v18, s[46:47]                   // 000000005DB4: D1000005 00BA2510
	v_perm_b32 v83, v5, v4, s52                                // 000000005DBC: D1ED0053 00D20905
	v_cmp_u_f32_e64 s[46:47], v88, v88                         // 000000005DC4: D048002E 0002B158
	v_add3_u32 v16, v88, v19, 1                                // 000000005DCC: D1FF0010 02062758
	v_cndmask_b32_e64 v4, v16, v18, s[46:47]                   // 000000005DD4: D1000004 00BA2510
	v_cmp_u_f32_e64 s[46:47], v89, v89                         // 000000005DDC: D048002E 0002B359
	v_add3_u32 v16, v89, v19, 1                                // 000000005DE4: D1FF0010 02062759
	v_cndmask_b32_e64 v5, v16, v18, s[46:47]                   // 000000005DEC: D1000005 00BA2510
	v_perm_b32 v84, v5, v4, s52                                // 000000005DF4: D1ED0054 00D20905
	v_cmp_u_f32_e64 s[46:47], v90, v90                         // 000000005DFC: D048002E 0002B55A
	v_add3_u32 v16, v90, v19, 1                                // 000000005E04: D1FF0010 0206275A
	v_cndmask_b32_e64 v4, v16, v18, s[46:47]                   // 000000005E0C: D1000004 00BA2510
	v_cmp_u_f32_e64 s[46:47], v91, v91                         // 000000005E14: D048002E 0002B75B
	v_add3_u32 v16, v91, v19, 1                                // 000000005E1C: D1FF0010 0206275B
	v_cndmask_b32_e64 v5, v16, v18, s[46:47]                   // 000000005E24: D1000005 00BA2510
	v_perm_b32 v85, v5, v4, s52                                // 000000005E2C: D1ED0055 00D20905
	v_cmp_u_f32_e64 s[46:47], v92, v92                         // 000000005E34: D048002E 0002B95C
	v_add3_u32 v16, v92, v19, 1                                // 000000005E3C: D1FF0010 0206275C
	v_cndmask_b32_e64 v4, v16, v18, s[46:47]                   // 000000005E44: D1000004 00BA2510
	v_cmp_u_f32_e64 s[46:47], v93, v93                         // 000000005E4C: D048002E 0002BB5D
	v_add3_u32 v16, v93, v19, 1                                // 000000005E54: D1FF0010 0206275D
	v_cndmask_b32_e64 v5, v16, v18, s[46:47]                   // 000000005E5C: D1000005 00BA2510
	v_perm_b32 v86, v5, v4, s52                                // 000000005E64: D1ED0056 00D20905
	v_cmp_u_f32_e64 s[46:47], v94, v94                         // 000000005E6C: D048002E 0002BD5E
	v_add3_u32 v16, v94, v19, 1                                // 000000005E74: D1FF0010 0206275E
	v_cndmask_b32_e64 v4, v16, v18, s[46:47]                   // 000000005E7C: D1000004 00BA2510
	v_cmp_u_f32_e64 s[46:47], v95, v95                         // 000000005E84: D048002E 0002BF5F
	v_add3_u32 v16, v95, v19, 1                                // 000000005E8C: D1FF0010 0206275F
	v_cndmask_b32_e64 v5, v16, v18, s[46:47]                   // 000000005E94: D1000005 00BA2510
	v_perm_b32 v87, v5, v4, s52                                // 000000005E9C: D1ED0057 00D20905
	v_cmp_u_f32_e64 s[46:47], v96, v96                         // 000000005EA4: D048002E 0002C160
	v_add3_u32 v16, v96, v19, 1                                // 000000005EAC: D1FF0010 02062760
	v_cndmask_b32_e64 v4, v16, v18, s[46:47]                   // 000000005EB4: D1000004 00BA2510
	v_cmp_u_f32_e64 s[46:47], v97, v97                         // 000000005EBC: D048002E 0002C361
	v_add3_u32 v16, v97, v19, 1                                // 000000005EC4: D1FF0010 02062761
	v_cndmask_b32_e64 v5, v16, v18, s[46:47]                   // 000000005ECC: D1000005 00BA2510
	v_perm_b32 v88, v5, v4, s52                                // 000000005ED4: D1ED0058 00D20905
	v_cmp_u_f32_e64 s[46:47], v98, v98                         // 000000005EDC: D048002E 0002C562
	v_add3_u32 v16, v98, v19, 1                                // 000000005EE4: D1FF0010 02062762
	v_cndmask_b32_e64 v4, v16, v18, s[46:47]                   // 000000005EEC: D1000004 00BA2510
	v_cmp_u_f32_e64 s[46:47], v99, v99                         // 000000005EF4: D048002E 0002C763
	v_add3_u32 v16, v99, v19, 1                                // 000000005EFC: D1FF0010 02062763
	v_cndmask_b32_e64 v5, v16, v18, s[46:47]                   // 000000005F04: D1000005 00BA2510
	v_perm_b32 v89, v5, v4, s52                                // 000000005F0C: D1ED0059 00D20905
	v_cmp_u_f32_e64 s[46:47], v100, v100                       // 000000005F14: D048002E 0002C964
	v_add3_u32 v16, v100, v19, 1                               // 000000005F1C: D1FF0010 02062764
	v_cndmask_b32_e64 v4, v16, v18, s[46:47]                   // 000000005F24: D1000004 00BA2510
	v_cmp_u_f32_e64 s[46:47], v101, v101                       // 000000005F2C: D048002E 0002CB65
	v_add3_u32 v16, v101, v19, 1                               // 000000005F34: D1FF0010 02062765
	v_cndmask_b32_e64 v5, v16, v18, s[46:47]                   // 000000005F3C: D1000005 00BA2510
	v_perm_b32 v90, v5, v4, s52                                // 000000005F44: D1ED005A 00D20905
	v_cmp_u_f32_e64 s[46:47], v102, v102                       // 000000005F4C: D048002E 0002CD66
	v_add3_u32 v16, v102, v19, 1                               // 000000005F54: D1FF0010 02062766
	v_cndmask_b32_e64 v4, v16, v18, s[46:47]                   // 000000005F5C: D1000004 00BA2510
	v_cmp_u_f32_e64 s[46:47], v103, v103                       // 000000005F64: D048002E 0002CF67
	v_add3_u32 v16, v103, v19, 1                               // 000000005F6C: D1FF0010 02062767
	v_cndmask_b32_e64 v5, v16, v18, s[46:47]                   // 000000005F74: D1000005 00BA2510
	v_perm_b32 v91, v5, v4, s52                                // 000000005F7C: D1ED005B 00D20905
	v_cmp_u_f32_e64 s[46:47], v104, v104                       // 000000005F84: D048002E 0002D168
	v_add3_u32 v16, v104, v19, 1                               // 000000005F8C: D1FF0010 02062768
	v_cndmask_b32_e64 v4, v16, v18, s[46:47]                   // 000000005F94: D1000004 00BA2510
	v_cmp_u_f32_e64 s[46:47], v105, v105                       // 000000005F9C: D048002E 0002D369
	v_add3_u32 v16, v105, v19, 1                               // 000000005FA4: D1FF0010 02062769
	v_cndmask_b32_e64 v5, v16, v18, s[46:47]                   // 000000005FAC: D1000005 00BA2510
	v_perm_b32 v92, v5, v4, s52                                // 000000005FB4: D1ED005C 00D20905
	v_cmp_u_f32_e64 s[46:47], v106, v106                       // 000000005FBC: D048002E 0002D56A
	v_add3_u32 v16, v106, v19, 1                               // 000000005FC4: D1FF0010 0206276A
	v_cndmask_b32_e64 v4, v16, v18, s[46:47]                   // 000000005FCC: D1000004 00BA2510
	v_cmp_u_f32_e64 s[46:47], v107, v107                       // 000000005FD4: D048002E 0002D76B
	v_add3_u32 v16, v107, v19, 1                               // 000000005FDC: D1FF0010 0206276B
	v_cndmask_b32_e64 v5, v16, v18, s[46:47]                   // 000000005FE4: D1000005 00BA2510
	v_perm_b32 v93, v5, v4, s52                                // 000000005FEC: D1ED005D 00D20905
	v_cmp_u_f32_e64 s[46:47], v108, v108                       // 000000005FF4: D048002E 0002D96C
	v_add3_u32 v16, v108, v19, 1                               // 000000005FFC: D1FF0010 0206276C
	v_cndmask_b32_e64 v4, v16, v18, s[46:47]                   // 000000006004: D1000004 00BA2510
	v_cmp_u_f32_e64 s[46:47], v109, v109                       // 00000000600C: D048002E 0002DB6D
	v_add3_u32 v16, v109, v19, 1                               // 000000006014: D1FF0010 0206276D
	v_cndmask_b32_e64 v5, v16, v18, s[46:47]                   // 00000000601C: D1000005 00BA2510
	v_perm_b32 v94, v5, v4, s52                                // 000000006024: D1ED005E 00D20905
	v_cmp_u_f32_e64 s[46:47], v110, v110                       // 00000000602C: D048002E 0002DD6E
	v_add3_u32 v16, v110, v19, 1                               // 000000006034: D1FF0010 0206276E
	v_cndmask_b32_e64 v4, v16, v18, s[46:47]                   // 00000000603C: D1000004 00BA2510
	v_cmp_u_f32_e64 s[46:47], v111, v111                       // 000000006044: D048002E 0002DF6F
	v_add3_u32 v16, v111, v19, 1                               // 00000000604C: D1FF0010 0206276F
	v_cndmask_b32_e64 v5, v16, v18, s[46:47]                   // 000000006054: D1000005 00BA2510
	v_perm_b32 v95, v5, v4, s52                                // 00000000605C: D1ED005F 00D20905
	v_cmp_u_f32_e64 s[46:47], v112, v112                       // 000000006064: D048002E 0002E170
	v_add3_u32 v16, v112, v19, 1                               // 00000000606C: D1FF0010 02062770
	v_cndmask_b32_e64 v4, v16, v18, s[46:47]                   // 000000006074: D1000004 00BA2510
	v_cmp_u_f32_e64 s[46:47], v113, v113                       // 00000000607C: D048002E 0002E371
	v_add3_u32 v16, v113, v19, 1                               // 000000006084: D1FF0010 02062771
	v_cndmask_b32_e64 v5, v16, v18, s[46:47]                   // 00000000608C: D1000005 00BA2510
	v_perm_b32 v96, v5, v4, s52                                // 000000006094: D1ED0060 00D20905
	v_cmp_u_f32_e64 s[46:47], v114, v114                       // 00000000609C: D048002E 0002E572
	v_add3_u32 v16, v114, v19, 1                               // 0000000060A4: D1FF0010 02062772
	v_cndmask_b32_e64 v4, v16, v18, s[46:47]                   // 0000000060AC: D1000004 00BA2510
	v_cmp_u_f32_e64 s[46:47], v115, v115                       // 0000000060B4: D048002E 0002E773
	v_add3_u32 v16, v115, v19, 1                               // 0000000060BC: D1FF0010 02062773
	v_cndmask_b32_e64 v5, v16, v18, s[46:47]                   // 0000000060C4: D1000005 00BA2510
	v_perm_b32 v97, v5, v4, s52                                // 0000000060CC: D1ED0061 00D20905
	v_cmp_u_f32_e64 s[46:47], v116, v116                       // 0000000060D4: D048002E 0002E974
	v_add3_u32 v16, v116, v19, 1                               // 0000000060DC: D1FF0010 02062774
	v_cndmask_b32_e64 v4, v16, v18, s[46:47]                   // 0000000060E4: D1000004 00BA2510
	v_cmp_u_f32_e64 s[46:47], v117, v117                       // 0000000060EC: D048002E 0002EB75
	v_add3_u32 v16, v117, v19, 1                               // 0000000060F4: D1FF0010 02062775
	v_cndmask_b32_e64 v5, v16, v18, s[46:47]                   // 0000000060FC: D1000005 00BA2510
	v_perm_b32 v98, v5, v4, s52                                // 000000006104: D1ED0062 00D20905
	v_cmp_u_f32_e64 s[46:47], v118, v118                       // 00000000610C: D048002E 0002ED76
	v_add3_u32 v16, v118, v19, 1                               // 000000006114: D1FF0010 02062776
	v_cndmask_b32_e64 v4, v16, v18, s[46:47]                   // 00000000611C: D1000004 00BA2510
	v_cmp_u_f32_e64 s[46:47], v119, v119                       // 000000006124: D048002E 0002EF77
	v_add3_u32 v16, v119, v19, 1                               // 00000000612C: D1FF0010 02062777
	v_cndmask_b32_e64 v5, v16, v18, s[46:47]                   // 000000006134: D1000005 00BA2510
	v_perm_b32 v99, v5, v4, s52                                // 00000000613C: D1ED0063 00D20905
	v_cmp_u_f32_e64 s[46:47], v120, v120                       // 000000006144: D048002E 0002F178
	v_add3_u32 v16, v120, v19, 1                               // 00000000614C: D1FF0010 02062778
	v_cndmask_b32_e64 v4, v16, v18, s[46:47]                   // 000000006154: D1000004 00BA2510
	v_cmp_u_f32_e64 s[46:47], v121, v121                       // 00000000615C: D048002E 0002F379
	v_add3_u32 v16, v121, v19, 1                               // 000000006164: D1FF0010 02062779
	v_cndmask_b32_e64 v5, v16, v18, s[46:47]                   // 00000000616C: D1000005 00BA2510
	v_perm_b32 v100, v5, v4, s52                               // 000000006174: D1ED0064 00D20905
	v_cmp_u_f32_e64 s[46:47], v122, v122                       // 00000000617C: D048002E 0002F57A
	v_add3_u32 v16, v122, v19, 1                               // 000000006184: D1FF0010 0206277A
	v_cndmask_b32_e64 v4, v16, v18, s[46:47]                   // 00000000618C: D1000004 00BA2510
	v_cmp_u_f32_e64 s[46:47], v123, v123                       // 000000006194: D048002E 0002F77B
	v_add3_u32 v16, v123, v19, 1                               // 00000000619C: D1FF0010 0206277B
	v_cndmask_b32_e64 v5, v16, v18, s[46:47]                   // 0000000061A4: D1000005 00BA2510
	v_perm_b32 v101, v5, v4, s52                               // 0000000061AC: D1ED0065 00D20905
	v_cmp_u_f32_e64 s[46:47], v124, v124                       // 0000000061B4: D048002E 0002F97C
	v_add3_u32 v16, v124, v19, 1                               // 0000000061BC: D1FF0010 0206277C
	v_cndmask_b32_e64 v4, v16, v18, s[46:47]                   // 0000000061C4: D1000004 00BA2510
	v_cmp_u_f32_e64 s[46:47], v125, v125                       // 0000000061CC: D048002E 0002FB7D
	v_add3_u32 v16, v125, v19, 1                               // 0000000061D4: D1FF0010 0206277D
	v_cndmask_b32_e64 v5, v16, v18, s[46:47]                   // 0000000061DC: D1000005 00BA2510
	v_perm_b32 v102, v5, v4, s52                               // 0000000061E4: D1ED0066 00D20905
	v_cmp_u_f32_e64 s[46:47], v126, v126                       // 0000000061EC: D048002E 0002FD7E
	v_add3_u32 v16, v126, v19, 1                               // 0000000061F4: D1FF0010 0206277E
	v_cndmask_b32_e64 v4, v16, v18, s[46:47]                   // 0000000061FC: D1000004 00BA2510
	v_cmp_u_f32_e64 s[46:47], v127, v127                       // 000000006204: D048002E 0002FF7F
	v_add3_u32 v16, v127, v19, 1                               // 00000000620C: D1FF0010 0206277F
	v_cndmask_b32_e64 v5, v16, v18, s[46:47]                   // 000000006214: D1000005 00BA2510
	v_perm_b32 v103, v5, v4, s52                               // 00000000621C: D1ED0067 00D20905
	v_cmp_u_f32_e64 s[46:47], v128, v128                       // 000000006224: D048002E 00030180
	v_add3_u32 v16, v128, v19, 1                               // 00000000622C: D1FF0010 02062780
	v_cndmask_b32_e64 v4, v16, v18, s[46:47]                   // 000000006234: D1000004 00BA2510
	v_cmp_u_f32_e64 s[46:47], v129, v129                       // 00000000623C: D048002E 00030381
	v_add3_u32 v16, v129, v19, 1                               // 000000006244: D1FF0010 02062781
	v_cndmask_b32_e64 v5, v16, v18, s[46:47]                   // 00000000624C: D1000005 00BA2510
	v_perm_b32 v104, v5, v4, s52                               // 000000006254: D1ED0068 00D20905
	v_cmp_u_f32_e64 s[46:47], v130, v130                       // 00000000625C: D048002E 00030582
	v_add3_u32 v16, v130, v19, 1                               // 000000006264: D1FF0010 02062782
	v_cndmask_b32_e64 v4, v16, v18, s[46:47]                   // 00000000626C: D1000004 00BA2510
	v_cmp_u_f32_e64 s[46:47], v131, v131                       // 000000006274: D048002E 00030783
	v_add3_u32 v16, v131, v19, 1                               // 00000000627C: D1FF0010 02062783
	v_cndmask_b32_e64 v5, v16, v18, s[46:47]                   // 000000006284: D1000005 00BA2510
	v_perm_b32 v105, v5, v4, s52                               // 00000000628C: D1ED0069 00D20905
	v_cmp_u_f32_e64 s[46:47], v132, v132                       // 000000006294: D048002E 00030984
	v_add3_u32 v16, v132, v19, 1                               // 00000000629C: D1FF0010 02062784
	v_cndmask_b32_e64 v4, v16, v18, s[46:47]                   // 0000000062A4: D1000004 00BA2510
	v_cmp_u_f32_e64 s[46:47], v133, v133                       // 0000000062AC: D048002E 00030B85
	v_add3_u32 v16, v133, v19, 1                               // 0000000062B4: D1FF0010 02062785
	v_cndmask_b32_e64 v5, v16, v18, s[46:47]                   // 0000000062BC: D1000005 00BA2510
	v_perm_b32 v106, v5, v4, s52                               // 0000000062C4: D1ED006A 00D20905
	v_cmp_u_f32_e64 s[46:47], v134, v134                       // 0000000062CC: D048002E 00030D86
	v_add3_u32 v16, v134, v19, 1                               // 0000000062D4: D1FF0010 02062786
	v_cndmask_b32_e64 v4, v16, v18, s[46:47]                   // 0000000062DC: D1000004 00BA2510
	v_cmp_u_f32_e64 s[46:47], v135, v135                       // 0000000062E4: D048002E 00030F87
	v_add3_u32 v16, v135, v19, 1                               // 0000000062EC: D1FF0010 02062787
	v_cndmask_b32_e64 v5, v16, v18, s[46:47]                   // 0000000062F4: D1000005 00BA2510
	v_perm_b32 v107, v5, v4, s52                               // 0000000062FC: D1ED006B 00D20905
	v_cmp_u_f32_e64 s[46:47], v136, v136                       // 000000006304: D048002E 00031188
	v_add3_u32 v16, v136, v19, 1                               // 00000000630C: D1FF0010 02062788
	v_cndmask_b32_e64 v4, v16, v18, s[46:47]                   // 000000006314: D1000004 00BA2510
	v_cmp_u_f32_e64 s[46:47], v137, v137                       // 00000000631C: D048002E 00031389
	v_add3_u32 v16, v137, v19, 1                               // 000000006324: D1FF0010 02062789
	v_cndmask_b32_e64 v5, v16, v18, s[46:47]                   // 00000000632C: D1000005 00BA2510
	v_perm_b32 v108, v5, v4, s52                               // 000000006334: D1ED006C 00D20905
	v_cmp_u_f32_e64 s[46:47], v138, v138                       // 00000000633C: D048002E 0003158A
	v_add3_u32 v16, v138, v19, 1                               // 000000006344: D1FF0010 0206278A
	v_cndmask_b32_e64 v4, v16, v18, s[46:47]                   // 00000000634C: D1000004 00BA2510
	v_cmp_u_f32_e64 s[46:47], v139, v139                       // 000000006354: D048002E 0003178B
	v_add3_u32 v16, v139, v19, 1                               // 00000000635C: D1FF0010 0206278B
	v_cndmask_b32_e64 v5, v16, v18, s[46:47]                   // 000000006364: D1000005 00BA2510
	v_perm_b32 v109, v5, v4, s52                               // 00000000636C: D1ED006D 00D20905
	v_cmp_u_f32_e64 s[46:47], v140, v140                       // 000000006374: D048002E 0003198C
	v_add3_u32 v16, v140, v19, 1                               // 00000000637C: D1FF0010 0206278C
	v_cndmask_b32_e64 v4, v16, v18, s[46:47]                   // 000000006384: D1000004 00BA2510
	v_cmp_u_f32_e64 s[46:47], v141, v141                       // 00000000638C: D048002E 00031B8D
	v_add3_u32 v16, v141, v19, 1                               // 000000006394: D1FF0010 0206278D
	v_cndmask_b32_e64 v5, v16, v18, s[46:47]                   // 00000000639C: D1000005 00BA2510
	v_perm_b32 v110, v5, v4, s52                               // 0000000063A4: D1ED006E 00D20905
	v_cmp_u_f32_e64 s[46:47], v142, v142                       // 0000000063AC: D048002E 00031D8E
	v_add3_u32 v16, v142, v19, 1                               // 0000000063B4: D1FF0010 0206278E
	v_cndmask_b32_e64 v4, v16, v18, s[46:47]                   // 0000000063BC: D1000004 00BA2510
	v_cmp_u_f32_e64 s[46:47], v143, v143                       // 0000000063C4: D048002E 00031F8F
	v_add3_u32 v16, v143, v19, 1                               // 0000000063CC: D1FF0010 0206278F
	v_cndmask_b32_e64 v5, v16, v18, s[46:47]                   // 0000000063D4: D1000005 00BA2510
	v_perm_b32 v111, v5, v4, s52                               // 0000000063DC: D1ED006F 00D20905
	ds_write_b64 v20, v[80:81]                                 // 0000000063E4: D89A0000 00005014
	ds_write_b64 v20, v[82:83] offset:4352                     // 0000000063EC: D89A1100 00005214
	ds_write_b64 v20, v[84:85] offset:8704                     // 0000000063F4: D89A2200 00005414
	ds_write_b64 v20, v[86:87] offset:13056                    // 0000000063FC: D89A3300 00005614
	ds_write_b64 v20, v[88:89] offset:17408                    // 000000006404: D89A4400 00005814
	ds_write_b64 v20, v[90:91] offset:21760                    // 00000000640C: D89A5500 00005A14
	ds_write_b64 v20, v[92:93] offset:26112                    // 000000006414: D89A6600 00005C14
	ds_write_b64 v20, v[94:95] offset:30464                    // 00000000641C: D89A7700 00005E14
	ds_write_b64 v20, v[96:97] offset:2176                     // 000000006424: D89A0880 00006014
	ds_write_b64 v20, v[98:99] offset:6528                     // 00000000642C: D89A1980 00006214
	ds_write_b64 v20, v[100:101] offset:10880                  // 000000006434: D89A2A80 00006414
	ds_write_b64 v20, v[102:103] offset:15232                  // 00000000643C: D89A3B80 00006614
	ds_write_b64 v20, v[104:105] offset:19584                  // 000000006444: D89A4C80 00006814
	ds_write_b64 v20, v[106:107] offset:23936                  // 00000000644C: D89A5D80 00006A14
	ds_write_b64 v20, v[108:109] offset:28288                  // 000000006454: D89A6E80 00006C14
	ds_write_b64 v20, v[110:111] offset:32640                  // 00000000645C: D89A7F80 00006E14
	v_lshrrev_b32_e32 v4, 5, v0                                // 000000006464: 20080085
	v_xor_b32_e32 v5, 1, v4                                    // 000000006468: 2A0A0881
	s_mul_i32 s60, s65, 2                                      // 00000000646C: 923C8241
	s_cmp_eq_u32 s88, 0                                        // 000000006470: BF068058
	s_cselect_b32 s61, 1, 4                                    // 000000006474: 853D8481
	s_mul_i32 s60, s61, s60                                    // 000000006478: 923C3C3D
	v_readlane_b32 s82, v3, 0                                  // 00000000647C: D2890052 00010103
	s_lshr_b32 s61, s82, 24                                    // 000000006484: 8F3D9852
	s_and_b32 s82, s82, 0xffffff                               // 000000006488: 8652FF52 00FFFFFF
	s_mul_i32 s82, s82, s71                                    // 000000006490: 92524752
	s_mul_i32 s61, s60, s61                                    // 000000006494: 923D3D3C
	s_add_u32 s82, s82, s61                                    // 000000006498: 80523D52
	v_mul_lo_u32 v6, v5, s82                                   // 00000000649C: D2850006 0000A505
	v_readlane_b32 s82, v3, 1                                  // 0000000064A4: D2890052 00010303
	s_lshr_b32 s61, s82, 24                                    // 0000000064AC: 8F3D9852
	s_and_b32 s82, s82, 0xffffff                               // 0000000064B0: 8652FF52 00FFFFFF
	s_mul_i32 s82, s82, s71                                    // 0000000064B8: 92524752
	s_mul_i32 s61, s60, s61                                    // 0000000064BC: 923D3D3C
	s_add_u32 s82, s82, s61                                    // 0000000064C0: 80523D52
	v_mul_lo_u32 v7, v4, s82                                   // 0000000064C4: D2850007 0000A504
	v_add_u32_e32 v60, v6, v7                                  // 0000000064CC: 68780F06
	v_readlane_b32 s82, v3, 2                                  // 0000000064D0: D2890052 00010503
	s_lshr_b32 s61, s82, 24                                    // 0000000064D8: 8F3D9852
	s_and_b32 s82, s82, 0xffffff                               // 0000000064DC: 8652FF52 00FFFFFF
	s_mul_i32 s82, s82, s71                                    // 0000000064E4: 92524752
	s_mul_i32 s61, s60, s61                                    // 0000000064E8: 923D3D3C
	s_add_u32 s82, s82, s61                                    // 0000000064EC: 80523D52
	v_mul_lo_u32 v6, v5, s82                                   // 0000000064F0: D2850006 0000A505
	v_readlane_b32 s82, v3, 3                                  // 0000000064F8: D2890052 00010703
	s_lshr_b32 s61, s82, 24                                    // 000000006500: 8F3D9852
	s_and_b32 s82, s82, 0xffffff                               // 000000006504: 8652FF52 00FFFFFF
	s_mul_i32 s82, s82, s71                                    // 00000000650C: 92524752
	s_mul_i32 s61, s60, s61                                    // 000000006510: 923D3D3C
	s_add_u32 s82, s82, s61                                    // 000000006514: 80523D52
	v_mul_lo_u32 v7, v4, s82                                   // 000000006518: D2850007 0000A504
	v_add_u32_e32 v61, v6, v7                                  // 000000006520: 687A0F06
	v_readlane_b32 s82, v3, 4                                  // 000000006524: D2890052 00010903
	s_lshr_b32 s61, s82, 24                                    // 00000000652C: 8F3D9852
	s_and_b32 s82, s82, 0xffffff                               // 000000006530: 8652FF52 00FFFFFF
	s_mul_i32 s82, s82, s71                                    // 000000006538: 92524752
	s_mul_i32 s61, s60, s61                                    // 00000000653C: 923D3D3C
	s_add_u32 s82, s82, s61                                    // 000000006540: 80523D52
	v_mul_lo_u32 v6, v5, s82                                   // 000000006544: D2850006 0000A505
	v_readlane_b32 s82, v3, 5                                  // 00000000654C: D2890052 00010B03
	s_lshr_b32 s61, s82, 24                                    // 000000006554: 8F3D9852
	s_and_b32 s82, s82, 0xffffff                               // 000000006558: 8652FF52 00FFFFFF
	s_mul_i32 s82, s82, s71                                    // 000000006560: 92524752
	s_mul_i32 s61, s60, s61                                    // 000000006564: 923D3D3C
	s_add_u32 s82, s82, s61                                    // 000000006568: 80523D52
	v_mul_lo_u32 v7, v4, s82                                   // 00000000656C: D2850007 0000A504
	v_add_u32_e32 v62, v6, v7                                  // 000000006574: 687C0F06
	v_readlane_b32 s82, v3, 6                                  // 000000006578: D2890052 00010D03
	s_lshr_b32 s61, s82, 24                                    // 000000006580: 8F3D9852
	s_and_b32 s82, s82, 0xffffff                               // 000000006584: 8652FF52 00FFFFFF
	s_mul_i32 s82, s82, s71                                    // 00000000658C: 92524752
	s_mul_i32 s61, s60, s61                                    // 000000006590: 923D3D3C
	s_add_u32 s82, s82, s61                                    // 000000006594: 80523D52
	v_mul_lo_u32 v6, v5, s82                                   // 000000006598: D2850006 0000A505
	v_readlane_b32 s82, v3, 7                                  // 0000000065A0: D2890052 00010F03
	s_lshr_b32 s61, s82, 24                                    // 0000000065A8: 8F3D9852
	s_and_b32 s82, s82, 0xffffff                               // 0000000065AC: 8652FF52 00FFFFFF
	s_mul_i32 s82, s82, s71                                    // 0000000065B4: 92524752
	s_mul_i32 s61, s60, s61                                    // 0000000065B8: 923D3D3C
	s_add_u32 s82, s82, s61                                    // 0000000065BC: 80523D52
	v_mul_lo_u32 v7, v4, s82                                   // 0000000065C0: D2850007 0000A504
	v_add_u32_e32 v63, v6, v7                                  // 0000000065C8: 687E0F06
	v_readlane_b32 s82, v3, 8                                  // 0000000065CC: D2890052 00011103
	s_lshr_b32 s61, s82, 24                                    // 0000000065D4: 8F3D9852
	s_and_b32 s82, s82, 0xffffff                               // 0000000065D8: 8652FF52 00FFFFFF
	s_mul_i32 s82, s82, s71                                    // 0000000065E0: 92524752
	s_mul_i32 s61, s60, s61                                    // 0000000065E4: 923D3D3C
	s_add_u32 s82, s82, s61                                    // 0000000065E8: 80523D52
	v_mul_lo_u32 v6, v5, s82                                   // 0000000065EC: D2850006 0000A505
	v_readlane_b32 s82, v3, 9                                  // 0000000065F4: D2890052 00011303
	s_lshr_b32 s61, s82, 24                                    // 0000000065FC: 8F3D9852
	s_and_b32 s82, s82, 0xffffff                               // 000000006600: 8652FF52 00FFFFFF
	s_mul_i32 s82, s82, s71                                    // 000000006608: 92524752
	s_mul_i32 s61, s60, s61                                    // 00000000660C: 923D3D3C
	s_add_u32 s82, s82, s61                                    // 000000006610: 80523D52
	v_mul_lo_u32 v7, v4, s82                                   // 000000006614: D2850007 0000A504
	v_add_u32_e32 v64, v6, v7                                  // 00000000661C: 68800F06
	v_readlane_b32 s82, v3, 10                                 // 000000006620: D2890052 00011503
	s_lshr_b32 s61, s82, 24                                    // 000000006628: 8F3D9852
	s_and_b32 s82, s82, 0xffffff                               // 00000000662C: 8652FF52 00FFFFFF
	s_mul_i32 s82, s82, s71                                    // 000000006634: 92524752
	s_mul_i32 s61, s60, s61                                    // 000000006638: 923D3D3C
	s_add_u32 s82, s82, s61                                    // 00000000663C: 80523D52
	v_mul_lo_u32 v6, v5, s82                                   // 000000006640: D2850006 0000A505
	v_readlane_b32 s82, v3, 11                                 // 000000006648: D2890052 00011703
	s_lshr_b32 s61, s82, 24                                    // 000000006650: 8F3D9852
	s_and_b32 s82, s82, 0xffffff                               // 000000006654: 8652FF52 00FFFFFF
	s_mul_i32 s82, s82, s71                                    // 00000000665C: 92524752
	s_mul_i32 s61, s60, s61                                    // 000000006660: 923D3D3C
	s_add_u32 s82, s82, s61                                    // 000000006664: 80523D52
	v_mul_lo_u32 v7, v4, s82                                   // 000000006668: D2850007 0000A504
	v_add_u32_e32 v65, v6, v7                                  // 000000006670: 68820F06
	v_readlane_b32 s82, v3, 12                                 // 000000006674: D2890052 00011903
	s_lshr_b32 s61, s82, 24                                    // 00000000667C: 8F3D9852
	s_and_b32 s82, s82, 0xffffff                               // 000000006680: 8652FF52 00FFFFFF
	s_mul_i32 s82, s82, s71                                    // 000000006688: 92524752
	s_mul_i32 s61, s60, s61                                    // 00000000668C: 923D3D3C
	s_add_u32 s82, s82, s61                                    // 000000006690: 80523D52
	v_mul_lo_u32 v6, v5, s82                                   // 000000006694: D2850006 0000A505
	v_readlane_b32 s82, v3, 13                                 // 00000000669C: D2890052 00011B03
	s_lshr_b32 s61, s82, 24                                    // 0000000066A4: 8F3D9852
	s_and_b32 s82, s82, 0xffffff                               // 0000000066A8: 8652FF52 00FFFFFF
	s_mul_i32 s82, s82, s71                                    // 0000000066B0: 92524752
	s_mul_i32 s61, s60, s61                                    // 0000000066B4: 923D3D3C
	s_add_u32 s82, s82, s61                                    // 0000000066B8: 80523D52
	v_mul_lo_u32 v7, v4, s82                                   // 0000000066BC: D2850007 0000A504
	v_add_u32_e32 v66, v6, v7                                  // 0000000066C4: 68840F06
	v_readlane_b32 s82, v3, 14                                 // 0000000066C8: D2890052 00011D03
	s_lshr_b32 s61, s82, 24                                    // 0000000066D0: 8F3D9852
	s_and_b32 s82, s82, 0xffffff                               // 0000000066D4: 8652FF52 00FFFFFF
	s_mul_i32 s82, s82, s71                                    // 0000000066DC: 92524752
	s_mul_i32 s61, s60, s61                                    // 0000000066E0: 923D3D3C
	s_add_u32 s82, s82, s61                                    // 0000000066E4: 80523D52
	v_mul_lo_u32 v6, v5, s82                                   // 0000000066E8: D2850006 0000A505
	v_readlane_b32 s82, v3, 15                                 // 0000000066F0: D2890052 00011F03
	s_lshr_b32 s61, s82, 24                                    // 0000000066F8: 8F3D9852
	s_and_b32 s82, s82, 0xffffff                               // 0000000066FC: 8652FF52 00FFFFFF
	s_mul_i32 s82, s82, s71                                    // 000000006704: 92524752
	s_mul_i32 s61, s60, s61                                    // 000000006708: 923D3D3C
	s_add_u32 s82, s82, s61                                    // 00000000670C: 80523D52
	v_mul_lo_u32 v7, v4, s82                                   // 000000006710: D2850007 0000A504
	v_add_u32_e32 v67, v6, v7                                  // 000000006718: 68860F06
	v_readlane_b32 s82, v3, 16                                 // 00000000671C: D2890052 00012103
	s_lshr_b32 s61, s82, 24                                    // 000000006724: 8F3D9852
	s_and_b32 s82, s82, 0xffffff                               // 000000006728: 8652FF52 00FFFFFF
	s_mul_i32 s82, s82, s71                                    // 000000006730: 92524752
	s_mul_i32 s61, s60, s61                                    // 000000006734: 923D3D3C
	s_add_u32 s82, s82, s61                                    // 000000006738: 80523D52
	v_mul_lo_u32 v6, v5, s82                                   // 00000000673C: D2850006 0000A505
	v_readlane_b32 s82, v3, 17                                 // 000000006744: D2890052 00012303
	s_lshr_b32 s61, s82, 24                                    // 00000000674C: 8F3D9852
	s_and_b32 s82, s82, 0xffffff                               // 000000006750: 8652FF52 00FFFFFF
	s_mul_i32 s82, s82, s71                                    // 000000006758: 92524752
	s_mul_i32 s61, s60, s61                                    // 00000000675C: 923D3D3C
	s_add_u32 s82, s82, s61                                    // 000000006760: 80523D52
	v_mul_lo_u32 v7, v4, s82                                   // 000000006764: D2850007 0000A504
	v_add_u32_e32 v68, v6, v7                                  // 00000000676C: 68880F06
	v_readlane_b32 s82, v3, 18                                 // 000000006770: D2890052 00012503
	s_lshr_b32 s61, s82, 24                                    // 000000006778: 8F3D9852
	s_and_b32 s82, s82, 0xffffff                               // 00000000677C: 8652FF52 00FFFFFF
	s_mul_i32 s82, s82, s71                                    // 000000006784: 92524752
	s_mul_i32 s61, s60, s61                                    // 000000006788: 923D3D3C
	s_add_u32 s82, s82, s61                                    // 00000000678C: 80523D52
	v_mul_lo_u32 v6, v5, s82                                   // 000000006790: D2850006 0000A505
	v_readlane_b32 s82, v3, 19                                 // 000000006798: D2890052 00012703
	s_lshr_b32 s61, s82, 24                                    // 0000000067A0: 8F3D9852
	s_and_b32 s82, s82, 0xffffff                               // 0000000067A4: 8652FF52 00FFFFFF
	s_mul_i32 s82, s82, s71                                    // 0000000067AC: 92524752
	s_mul_i32 s61, s60, s61                                    // 0000000067B0: 923D3D3C
	s_add_u32 s82, s82, s61                                    // 0000000067B4: 80523D52
	v_mul_lo_u32 v7, v4, s82                                   // 0000000067B8: D2850007 0000A504
	v_add_u32_e32 v69, v6, v7                                  // 0000000067C0: 688A0F06
	v_readlane_b32 s82, v3, 20                                 // 0000000067C4: D2890052 00012903
	s_lshr_b32 s61, s82, 24                                    // 0000000067CC: 8F3D9852
	s_and_b32 s82, s82, 0xffffff                               // 0000000067D0: 8652FF52 00FFFFFF
	s_mul_i32 s82, s82, s71                                    // 0000000067D8: 92524752
	s_mul_i32 s61, s60, s61                                    // 0000000067DC: 923D3D3C
	s_add_u32 s82, s82, s61                                    // 0000000067E0: 80523D52
	v_mul_lo_u32 v6, v5, s82                                   // 0000000067E4: D2850006 0000A505
	v_readlane_b32 s82, v3, 21                                 // 0000000067EC: D2890052 00012B03
	s_lshr_b32 s61, s82, 24                                    // 0000000067F4: 8F3D9852
	s_and_b32 s82, s82, 0xffffff                               // 0000000067F8: 8652FF52 00FFFFFF
	s_mul_i32 s82, s82, s71                                    // 000000006800: 92524752
	s_mul_i32 s61, s60, s61                                    // 000000006804: 923D3D3C
	s_add_u32 s82, s82, s61                                    // 000000006808: 80523D52
	v_mul_lo_u32 v7, v4, s82                                   // 00000000680C: D2850007 0000A504
	v_add_u32_e32 v70, v6, v7                                  // 000000006814: 688C0F06
	v_readlane_b32 s82, v3, 22                                 // 000000006818: D2890052 00012D03
	s_lshr_b32 s61, s82, 24                                    // 000000006820: 8F3D9852
	s_and_b32 s82, s82, 0xffffff                               // 000000006824: 8652FF52 00FFFFFF
	s_mul_i32 s82, s82, s71                                    // 00000000682C: 92524752
	s_mul_i32 s61, s60, s61                                    // 000000006830: 923D3D3C
	s_add_u32 s82, s82, s61                                    // 000000006834: 80523D52
	v_mul_lo_u32 v6, v5, s82                                   // 000000006838: D2850006 0000A505
	v_readlane_b32 s82, v3, 23                                 // 000000006840: D2890052 00012F03
	s_lshr_b32 s61, s82, 24                                    // 000000006848: 8F3D9852
	s_and_b32 s82, s82, 0xffffff                               // 00000000684C: 8652FF52 00FFFFFF
	s_mul_i32 s82, s82, s71                                    // 000000006854: 92524752
	s_mul_i32 s61, s60, s61                                    // 000000006858: 923D3D3C
	s_add_u32 s82, s82, s61                                    // 00000000685C: 80523D52
	v_mul_lo_u32 v7, v4, s82                                   // 000000006860: D2850007 0000A504
	v_add_u32_e32 v71, v6, v7                                  // 000000006868: 688E0F06
	v_readlane_b32 s82, v3, 24                                 // 00000000686C: D2890052 00013103
	s_lshr_b32 s61, s82, 24                                    // 000000006874: 8F3D9852
	s_and_b32 s82, s82, 0xffffff                               // 000000006878: 8652FF52 00FFFFFF
	s_mul_i32 s82, s82, s71                                    // 000000006880: 92524752
	s_mul_i32 s61, s60, s61                                    // 000000006884: 923D3D3C
	s_add_u32 s82, s82, s61                                    // 000000006888: 80523D52
	v_mul_lo_u32 v6, v5, s82                                   // 00000000688C: D2850006 0000A505
	v_readlane_b32 s82, v3, 25                                 // 000000006894: D2890052 00013303
	s_lshr_b32 s61, s82, 24                                    // 00000000689C: 8F3D9852
	s_and_b32 s82, s82, 0xffffff                               // 0000000068A0: 8652FF52 00FFFFFF
	s_mul_i32 s82, s82, s71                                    // 0000000068A8: 92524752
	s_mul_i32 s61, s60, s61                                    // 0000000068AC: 923D3D3C
	s_add_u32 s82, s82, s61                                    // 0000000068B0: 80523D52
	v_mul_lo_u32 v7, v4, s82                                   // 0000000068B4: D2850007 0000A504
	v_add_u32_e32 v72, v6, v7                                  // 0000000068BC: 68900F06
	v_readlane_b32 s82, v3, 26                                 // 0000000068C0: D2890052 00013503
	s_lshr_b32 s61, s82, 24                                    // 0000000068C8: 8F3D9852
	s_and_b32 s82, s82, 0xffffff                               // 0000000068CC: 8652FF52 00FFFFFF
	s_mul_i32 s82, s82, s71                                    // 0000000068D4: 92524752
	s_mul_i32 s61, s60, s61                                    // 0000000068D8: 923D3D3C
	s_add_u32 s82, s82, s61                                    // 0000000068DC: 80523D52
	v_mul_lo_u32 v6, v5, s82                                   // 0000000068E0: D2850006 0000A505
	v_readlane_b32 s82, v3, 27                                 // 0000000068E8: D2890052 00013703
	s_lshr_b32 s61, s82, 24                                    // 0000000068F0: 8F3D9852
	s_and_b32 s82, s82, 0xffffff                               // 0000000068F4: 8652FF52 00FFFFFF
	s_mul_i32 s82, s82, s71                                    // 0000000068FC: 92524752
	s_mul_i32 s61, s60, s61                                    // 000000006900: 923D3D3C
	s_add_u32 s82, s82, s61                                    // 000000006904: 80523D52
	v_mul_lo_u32 v7, v4, s82                                   // 000000006908: D2850007 0000A504
	v_add_u32_e32 v73, v6, v7                                  // 000000006910: 68920F06
	v_readlane_b32 s82, v3, 28                                 // 000000006914: D2890052 00013903
	s_lshr_b32 s61, s82, 24                                    // 00000000691C: 8F3D9852
	s_and_b32 s82, s82, 0xffffff                               // 000000006920: 8652FF52 00FFFFFF
	s_mul_i32 s82, s82, s71                                    // 000000006928: 92524752
	s_mul_i32 s61, s60, s61                                    // 00000000692C: 923D3D3C
	s_add_u32 s82, s82, s61                                    // 000000006930: 80523D52
	v_mul_lo_u32 v6, v5, s82                                   // 000000006934: D2850006 0000A505
	v_readlane_b32 s82, v3, 29                                 // 00000000693C: D2890052 00013B03
	s_lshr_b32 s61, s82, 24                                    // 000000006944: 8F3D9852
	s_and_b32 s82, s82, 0xffffff                               // 000000006948: 8652FF52 00FFFFFF
	s_mul_i32 s82, s82, s71                                    // 000000006950: 92524752
	s_mul_i32 s61, s60, s61                                    // 000000006954: 923D3D3C
	s_add_u32 s82, s82, s61                                    // 000000006958: 80523D52
	v_mul_lo_u32 v7, v4, s82                                   // 00000000695C: D2850007 0000A504
	v_add_u32_e32 v74, v6, v7                                  // 000000006964: 68940F06
	v_readlane_b32 s82, v3, 30                                 // 000000006968: D2890052 00013D03
	s_lshr_b32 s61, s82, 24                                    // 000000006970: 8F3D9852
	s_and_b32 s82, s82, 0xffffff                               // 000000006974: 8652FF52 00FFFFFF
	s_mul_i32 s82, s82, s71                                    // 00000000697C: 92524752
	s_mul_i32 s61, s60, s61                                    // 000000006980: 923D3D3C
	s_add_u32 s82, s82, s61                                    // 000000006984: 80523D52
	v_mul_lo_u32 v6, v5, s82                                   // 000000006988: D2850006 0000A505
	v_readlane_b32 s82, v3, 31                                 // 000000006990: D2890052 00013F03
	s_lshr_b32 s61, s82, 24                                    // 000000006998: 8F3D9852
	s_and_b32 s82, s82, 0xffffff                               // 00000000699C: 8652FF52 00FFFFFF
	s_mul_i32 s82, s82, s71                                    // 0000000069A4: 92524752
	s_mul_i32 s61, s60, s61                                    // 0000000069A8: 923D3D3C
	s_add_u32 s82, s82, s61                                    // 0000000069AC: 80523D52
	v_mul_lo_u32 v7, v4, s82                                   // 0000000069B0: D2850007 0000A504
	v_add_u32_e32 v75, v6, v7                                  // 0000000069B8: 68960F06
	v_and_b32_e32 v4, 31, v0                                   // 0000000069BC: 2608009F
	v_lshrrev_b32_e32 v4, 1, v4                                // 0000000069C0: 20080881
	s_cmp_eq_u32 s88, 0                                        // 0000000069C4: BF068058
	s_cselect_b32 s61, 2, 4                                    // 0000000069C8: 853D8482
	v_mul_lo_u32 v4, v4, s61                                   // 0000000069CC: D2850004 00007B04
	v_and_b32_e64 v5, v0, 1                                    // 0000000069D4: D1130005 00010300
	v_add_u32_e32 v4, v4, v5                                   // 0000000069DC: 68080B04
	v_lshlrev_b32_e32 v4, 2, v4                                // 0000000069E0: 24080882
	v_add_u32_e32 v60, v60, v4                                 // 0000000069E4: 6878093C
	v_add_u32_e32 v61, v61, v4                                 // 0000000069E8: 687A093D
	v_add_u32_e32 v62, v62, v4                                 // 0000000069EC: 687C093E
	v_add_u32_e32 v63, v63, v4                                 // 0000000069F0: 687E093F
	v_add_u32_e32 v64, v64, v4                                 // 0000000069F4: 68800940
	v_add_u32_e32 v65, v65, v4                                 // 0000000069F8: 68820941
	v_add_u32_e32 v66, v66, v4                                 // 0000000069FC: 68840942
	v_add_u32_e32 v67, v67, v4                                 // 000000006A00: 68860943
	v_add_u32_e32 v68, v68, v4                                 // 000000006A04: 68880944
	v_add_u32_e32 v69, v69, v4                                 // 000000006A08: 688A0945
	v_add_u32_e32 v70, v70, v4                                 // 000000006A0C: 688C0946
	v_add_u32_e32 v71, v71, v4                                 // 000000006A10: 688E0947
	v_add_u32_e32 v72, v72, v4                                 // 000000006A14: 68900948
	v_add_u32_e32 v73, v73, v4                                 // 000000006A18: 68920949
	v_add_u32_e32 v74, v74, v4                                 // 000000006A1C: 6894094A
	v_add_u32_e32 v75, v75, v4                                 // 000000006A20: 6896094B
	s_waitcnt lgkmcnt(0)                                       // 000000006A24: BF8CC07F
	s_barrier                                                  // 000000006A28: BF8A0000
	ds_read_b32 v80, v21                                       // 000000006A2C: D86C0000 50000015
	ds_read_b32 v81, v21 offset:64                             // 000000006A34: D86C0040 51000015
	ds_read_b32 v82, v21 offset:2176                           // 000000006A3C: D86C0880 52000015
	ds_read_b32 v83, v21 offset:2240                           // 000000006A44: D86C08C0 53000015
	ds_read_b32 v84, v21 offset:4352                           // 000000006A4C: D86C1100 54000015
	ds_read_b32 v85, v21 offset:4416                           // 000000006A54: D86C1140 55000015
	ds_read_b32 v86, v21 offset:6528                           // 000000006A5C: D86C1980 56000015
	ds_read_b32 v87, v21 offset:6592                           // 000000006A64: D86C19C0 57000015
	ds_read_b32 v88, v21 offset:8704                           // 000000006A6C: D86C2200 58000015
	ds_read_b32 v89, v21 offset:8768                           // 000000006A74: D86C2240 59000015
	ds_read_b32 v90, v21 offset:10880                          // 000000006A7C: D86C2A80 5A000015
	ds_read_b32 v91, v21 offset:10944                          // 000000006A84: D86C2AC0 5B000015
	ds_read_b32 v92, v21 offset:13056                          // 000000006A8C: D86C3300 5C000015
	ds_read_b32 v93, v21 offset:13120                          // 000000006A94: D86C3340 5D000015
	ds_read_b32 v94, v21 offset:15232                          // 000000006A9C: D86C3B80 5E000015
	ds_read_b32 v95, v21 offset:15296                          // 000000006AA4: D86C3BC0 5F000015
	ds_read_b32 v96, v21 offset:17408                          // 000000006AAC: D86C4400 60000015
	ds_read_b32 v97, v21 offset:17472                          // 000000006AB4: D86C4440 61000015
	ds_read_b32 v98, v21 offset:19584                          // 000000006ABC: D86C4C80 62000015
	ds_read_b32 v99, v21 offset:19648                          // 000000006AC4: D86C4CC0 63000015
	ds_read_b32 v100, v21 offset:21760                         // 000000006ACC: D86C5500 64000015
	ds_read_b32 v101, v21 offset:21824                         // 000000006AD4: D86C5540 65000015
	ds_read_b32 v102, v21 offset:23936                         // 000000006ADC: D86C5D80 66000015
	ds_read_b32 v103, v21 offset:24000                         // 000000006AE4: D86C5DC0 67000015
	ds_read_b32 v104, v21 offset:26112                         // 000000006AEC: D86C6600 68000015
	ds_read_b32 v105, v21 offset:26176                         // 000000006AF4: D86C6640 69000015
	ds_read_b32 v106, v21 offset:28288                         // 000000006AFC: D86C6E80 6A000015
	ds_read_b32 v107, v21 offset:28352                         // 000000006B04: D86C6EC0 6B000015
	ds_read_b32 v108, v21 offset:30464                         // 000000006B0C: D86C7700 6C000015
	ds_read_b32 v109, v21 offset:30528                         // 000000006B14: D86C7740 6D000015
	ds_read_b32 v110, v21 offset:32640                         // 000000006B1C: D86C7F80 6E000015
	ds_read_b32 v111, v21 offset:32704                         // 000000006B24: D86C7FC0 6F000015
	s_waitcnt lgkmcnt(0)                                       // 000000006B2C: BF8CC07F
	s_mov_b32 s36, -1                                          // 000000006B30: BEA400C1
	s_mov_b32 s37, -1                                          // 000000006B34: BEA500C1
	v_mov_b32_e32 v7, 0                                        // 000000006B38: 7E0E0280
	s_or_b32 s9, s9, 0x40000                                   // 000000006B3C: 8709FF09 00040000
	s_mov_b64 exec, s[36:37]                                   // 000000006B44: BEFE0124
	v_mov_b32_e32 v6, v60                                      // 000000006B48: 7E0C033C
	s_mov_b64 s[60:61], 0                                      // 000000006B4C: BEBC0180
	v_readlane_b32 s82, v3, 0                                  // 000000006B50: D2890052 00010103
	s_and_b32 s82, s82, 0xffffff                               // 000000006B58: 8652FF52 00FFFFFF
	s_cmp_lt_u32 s82, s66                                      // 000000006B60: BF0A4252
	s_cselect_b32 s20, s36, s60                                // 000000006B64: 85143C24
	v_readlane_b32 s82, v3, 1                                  // 000000006B68: D2890052 00010303
	s_and_b32 s82, s82, 0xffffff                               // 000000006B70: 8652FF52 00FFFFFF
	s_cmp_lt_u32 s82, s66                                      // 000000006B78: BF0A4252
	s_cselect_b32 s21, s36, s60                                // 000000006B7C: 85153C24
	s_mov_b64 exec, s[20:21]                                   // 000000006B80: BEFE0114
	buffer_store_dword v80, v6, s[8:11], 0 offen               // 000000006B84: E0701000 80025006
	buffer_store_dword v82, v6, s[8:11], 0 offen offset:128    // 000000006B8C: E0701080 80025206
	s_mov_b64 exec, s[36:37]                                   // 000000006B94: BEFE0124
	v_mov_b32_e32 v6, v61                                      // 000000006B98: 7E0C033D
	s_mov_b64 s[60:61], 0                                      // 000000006B9C: BEBC0180
	v_readlane_b32 s82, v3, 2                                  // 000000006BA0: D2890052 00010503
	s_and_b32 s82, s82, 0xffffff                               // 000000006BA8: 8652FF52 00FFFFFF
	s_cmp_lt_u32 s82, s66                                      // 000000006BB0: BF0A4252
	s_cselect_b32 s20, s36, s60                                // 000000006BB4: 85143C24
	v_readlane_b32 s82, v3, 3                                  // 000000006BB8: D2890052 00010703
	s_and_b32 s82, s82, 0xffffff                               // 000000006BC0: 8652FF52 00FFFFFF
	s_cmp_lt_u32 s82, s66                                      // 000000006BC8: BF0A4252
	s_cselect_b32 s21, s36, s60                                // 000000006BCC: 85153C24
	s_mov_b64 exec, s[20:21]                                   // 000000006BD0: BEFE0114
	buffer_store_dword v81, v6, s[8:11], 0 offen               // 000000006BD4: E0701000 80025106
	buffer_store_dword v83, v6, s[8:11], 0 offen offset:128    // 000000006BDC: E0701080 80025306
	s_mov_b64 exec, s[36:37]                                   // 000000006BE4: BEFE0124
	v_mov_b32_e32 v6, v62                                      // 000000006BE8: 7E0C033E
	s_mov_b64 s[60:61], 0                                      // 000000006BEC: BEBC0180
	v_readlane_b32 s82, v3, 4                                  // 000000006BF0: D2890052 00010903
	s_and_b32 s82, s82, 0xffffff                               // 000000006BF8: 8652FF52 00FFFFFF
	s_cmp_lt_u32 s82, s66                                      // 000000006C00: BF0A4252
	s_cselect_b32 s20, s36, s60                                // 000000006C04: 85143C24
	v_readlane_b32 s82, v3, 5                                  // 000000006C08: D2890052 00010B03
	s_and_b32 s82, s82, 0xffffff                               // 000000006C10: 8652FF52 00FFFFFF
	s_cmp_lt_u32 s82, s66                                      // 000000006C18: BF0A4252
	s_cselect_b32 s21, s36, s60                                // 000000006C1C: 85153C24
	s_mov_b64 exec, s[20:21]                                   // 000000006C20: BEFE0114
	buffer_store_dword v84, v6, s[8:11], 0 offen               // 000000006C24: E0701000 80025406
	buffer_store_dword v86, v6, s[8:11], 0 offen offset:128    // 000000006C2C: E0701080 80025606
	s_mov_b64 exec, s[36:37]                                   // 000000006C34: BEFE0124
	v_mov_b32_e32 v6, v63                                      // 000000006C38: 7E0C033F
	s_mov_b64 s[60:61], 0                                      // 000000006C3C: BEBC0180
	v_readlane_b32 s82, v3, 6                                  // 000000006C40: D2890052 00010D03
	s_and_b32 s82, s82, 0xffffff                               // 000000006C48: 8652FF52 00FFFFFF
	s_cmp_lt_u32 s82, s66                                      // 000000006C50: BF0A4252
	s_cselect_b32 s20, s36, s60                                // 000000006C54: 85143C24
	v_readlane_b32 s82, v3, 7                                  // 000000006C58: D2890052 00010F03
	s_and_b32 s82, s82, 0xffffff                               // 000000006C60: 8652FF52 00FFFFFF
	s_cmp_lt_u32 s82, s66                                      // 000000006C68: BF0A4252
	s_cselect_b32 s21, s36, s60                                // 000000006C6C: 85153C24
	s_mov_b64 exec, s[20:21]                                   // 000000006C70: BEFE0114
	buffer_store_dword v85, v6, s[8:11], 0 offen               // 000000006C74: E0701000 80025506
	buffer_store_dword v87, v6, s[8:11], 0 offen offset:128    // 000000006C7C: E0701080 80025706
	s_mov_b64 exec, s[36:37]                                   // 000000006C84: BEFE0124
	v_mov_b32_e32 v6, v64                                      // 000000006C88: 7E0C0340
	s_mov_b64 s[60:61], 0                                      // 000000006C8C: BEBC0180
	v_readlane_b32 s82, v3, 8                                  // 000000006C90: D2890052 00011103
	s_and_b32 s82, s82, 0xffffff                               // 000000006C98: 8652FF52 00FFFFFF
	s_cmp_lt_u32 s82, s66                                      // 000000006CA0: BF0A4252
	s_cselect_b32 s20, s36, s60                                // 000000006CA4: 85143C24
	v_readlane_b32 s82, v3, 9                                  // 000000006CA8: D2890052 00011303
	s_and_b32 s82, s82, 0xffffff                               // 000000006CB0: 8652FF52 00FFFFFF
	s_cmp_lt_u32 s82, s66                                      // 000000006CB8: BF0A4252
	s_cselect_b32 s21, s36, s60                                // 000000006CBC: 85153C24
	s_mov_b64 exec, s[20:21]                                   // 000000006CC0: BEFE0114
	buffer_store_dword v88, v6, s[8:11], 0 offen               // 000000006CC4: E0701000 80025806
	buffer_store_dword v90, v6, s[8:11], 0 offen offset:128    // 000000006CCC: E0701080 80025A06
	s_mov_b64 exec, s[36:37]                                   // 000000006CD4: BEFE0124
	v_mov_b32_e32 v6, v65                                      // 000000006CD8: 7E0C0341
	s_mov_b64 s[60:61], 0                                      // 000000006CDC: BEBC0180
	v_readlane_b32 s82, v3, 10                                 // 000000006CE0: D2890052 00011503
	s_and_b32 s82, s82, 0xffffff                               // 000000006CE8: 8652FF52 00FFFFFF
	s_cmp_lt_u32 s82, s66                                      // 000000006CF0: BF0A4252
	s_cselect_b32 s20, s36, s60                                // 000000006CF4: 85143C24
	v_readlane_b32 s82, v3, 11                                 // 000000006CF8: D2890052 00011703
	s_and_b32 s82, s82, 0xffffff                               // 000000006D00: 8652FF52 00FFFFFF
	s_cmp_lt_u32 s82, s66                                      // 000000006D08: BF0A4252
	s_cselect_b32 s21, s36, s60                                // 000000006D0C: 85153C24
	s_mov_b64 exec, s[20:21]                                   // 000000006D10: BEFE0114
	buffer_store_dword v89, v6, s[8:11], 0 offen               // 000000006D14: E0701000 80025906
	buffer_store_dword v91, v6, s[8:11], 0 offen offset:128    // 000000006D1C: E0701080 80025B06
	s_mov_b64 exec, s[36:37]                                   // 000000006D24: BEFE0124
	v_mov_b32_e32 v6, v66                                      // 000000006D28: 7E0C0342
	s_mov_b64 s[60:61], 0                                      // 000000006D2C: BEBC0180
	v_readlane_b32 s82, v3, 12                                 // 000000006D30: D2890052 00011903
	s_and_b32 s82, s82, 0xffffff                               // 000000006D38: 8652FF52 00FFFFFF
	s_cmp_lt_u32 s82, s66                                      // 000000006D40: BF0A4252
	s_cselect_b32 s20, s36, s60                                // 000000006D44: 85143C24
	v_readlane_b32 s82, v3, 13                                 // 000000006D48: D2890052 00011B03
	s_and_b32 s82, s82, 0xffffff                               // 000000006D50: 8652FF52 00FFFFFF
	s_cmp_lt_u32 s82, s66                                      // 000000006D58: BF0A4252
	s_cselect_b32 s21, s36, s60                                // 000000006D5C: 85153C24
	s_mov_b64 exec, s[20:21]                                   // 000000006D60: BEFE0114
	buffer_store_dword v92, v6, s[8:11], 0 offen               // 000000006D64: E0701000 80025C06
	buffer_store_dword v94, v6, s[8:11], 0 offen offset:128    // 000000006D6C: E0701080 80025E06
	s_mov_b64 exec, s[36:37]                                   // 000000006D74: BEFE0124
	v_mov_b32_e32 v6, v67                                      // 000000006D78: 7E0C0343
	s_mov_b64 s[60:61], 0                                      // 000000006D7C: BEBC0180
	v_readlane_b32 s82, v3, 14                                 // 000000006D80: D2890052 00011D03
	s_and_b32 s82, s82, 0xffffff                               // 000000006D88: 8652FF52 00FFFFFF
	s_cmp_lt_u32 s82, s66                                      // 000000006D90: BF0A4252
	s_cselect_b32 s20, s36, s60                                // 000000006D94: 85143C24
	v_readlane_b32 s82, v3, 15                                 // 000000006D98: D2890052 00011F03
	s_and_b32 s82, s82, 0xffffff                               // 000000006DA0: 8652FF52 00FFFFFF
	s_cmp_lt_u32 s82, s66                                      // 000000006DA8: BF0A4252
	s_cselect_b32 s21, s36, s60                                // 000000006DAC: 85153C24
	s_mov_b64 exec, s[20:21]                                   // 000000006DB0: BEFE0114
	buffer_store_dword v93, v6, s[8:11], 0 offen               // 000000006DB4: E0701000 80025D06
	buffer_store_dword v95, v6, s[8:11], 0 offen offset:128    // 000000006DBC: E0701080 80025F06
	s_mov_b64 exec, s[36:37]                                   // 000000006DC4: BEFE0124
	v_mov_b32_e32 v6, v68                                      // 000000006DC8: 7E0C0344
	s_mov_b64 s[60:61], 0                                      // 000000006DCC: BEBC0180
	v_readlane_b32 s82, v3, 16                                 // 000000006DD0: D2890052 00012103
	s_and_b32 s82, s82, 0xffffff                               // 000000006DD8: 8652FF52 00FFFFFF
	s_cmp_lt_u32 s82, s66                                      // 000000006DE0: BF0A4252
	s_cselect_b32 s20, s36, s60                                // 000000006DE4: 85143C24
	v_readlane_b32 s82, v3, 17                                 // 000000006DE8: D2890052 00012303
	s_and_b32 s82, s82, 0xffffff                               // 000000006DF0: 8652FF52 00FFFFFF
	s_cmp_lt_u32 s82, s66                                      // 000000006DF8: BF0A4252
	s_cselect_b32 s21, s36, s60                                // 000000006DFC: 85153C24
	s_mov_b64 exec, s[20:21]                                   // 000000006E00: BEFE0114
	buffer_store_dword v96, v6, s[8:11], 0 offen               // 000000006E04: E0701000 80026006
	buffer_store_dword v98, v6, s[8:11], 0 offen offset:128    // 000000006E0C: E0701080 80026206
	s_mov_b64 exec, s[36:37]                                   // 000000006E14: BEFE0124
	v_mov_b32_e32 v6, v69                                      // 000000006E18: 7E0C0345
	s_mov_b64 s[60:61], 0                                      // 000000006E1C: BEBC0180
	v_readlane_b32 s82, v3, 18                                 // 000000006E20: D2890052 00012503
	s_and_b32 s82, s82, 0xffffff                               // 000000006E28: 8652FF52 00FFFFFF
	s_cmp_lt_u32 s82, s66                                      // 000000006E30: BF0A4252
	s_cselect_b32 s20, s36, s60                                // 000000006E34: 85143C24
	v_readlane_b32 s82, v3, 19                                 // 000000006E38: D2890052 00012703
	s_and_b32 s82, s82, 0xffffff                               // 000000006E40: 8652FF52 00FFFFFF
	s_cmp_lt_u32 s82, s66                                      // 000000006E48: BF0A4252
	s_cselect_b32 s21, s36, s60                                // 000000006E4C: 85153C24
	s_mov_b64 exec, s[20:21]                                   // 000000006E50: BEFE0114
	buffer_store_dword v97, v6, s[8:11], 0 offen               // 000000006E54: E0701000 80026106
	buffer_store_dword v99, v6, s[8:11], 0 offen offset:128    // 000000006E5C: E0701080 80026306
	s_mov_b64 exec, s[36:37]                                   // 000000006E64: BEFE0124
	v_mov_b32_e32 v6, v70                                      // 000000006E68: 7E0C0346
	s_mov_b64 s[60:61], 0                                      // 000000006E6C: BEBC0180
	v_readlane_b32 s82, v3, 20                                 // 000000006E70: D2890052 00012903
	s_and_b32 s82, s82, 0xffffff                               // 000000006E78: 8652FF52 00FFFFFF
	s_cmp_lt_u32 s82, s66                                      // 000000006E80: BF0A4252
	s_cselect_b32 s20, s36, s60                                // 000000006E84: 85143C24
	v_readlane_b32 s82, v3, 21                                 // 000000006E88: D2890052 00012B03
	s_and_b32 s82, s82, 0xffffff                               // 000000006E90: 8652FF52 00FFFFFF
	s_cmp_lt_u32 s82, s66                                      // 000000006E98: BF0A4252
	s_cselect_b32 s21, s36, s60                                // 000000006E9C: 85153C24
	s_mov_b64 exec, s[20:21]                                   // 000000006EA0: BEFE0114
	buffer_store_dword v100, v6, s[8:11], 0 offen              // 000000006EA4: E0701000 80026406
	buffer_store_dword v102, v6, s[8:11], 0 offen offset:128   // 000000006EAC: E0701080 80026606
	s_mov_b64 exec, s[36:37]                                   // 000000006EB4: BEFE0124
	v_mov_b32_e32 v6, v71                                      // 000000006EB8: 7E0C0347
	s_mov_b64 s[60:61], 0                                      // 000000006EBC: BEBC0180
	v_readlane_b32 s82, v3, 22                                 // 000000006EC0: D2890052 00012D03
	s_and_b32 s82, s82, 0xffffff                               // 000000006EC8: 8652FF52 00FFFFFF
	s_cmp_lt_u32 s82, s66                                      // 000000006ED0: BF0A4252
	s_cselect_b32 s20, s36, s60                                // 000000006ED4: 85143C24
	v_readlane_b32 s82, v3, 23                                 // 000000006ED8: D2890052 00012F03
	s_and_b32 s82, s82, 0xffffff                               // 000000006EE0: 8652FF52 00FFFFFF
	s_cmp_lt_u32 s82, s66                                      // 000000006EE8: BF0A4252
	s_cselect_b32 s21, s36, s60                                // 000000006EEC: 85153C24
	s_mov_b64 exec, s[20:21]                                   // 000000006EF0: BEFE0114
	buffer_store_dword v101, v6, s[8:11], 0 offen              // 000000006EF4: E0701000 80026506
	buffer_store_dword v103, v6, s[8:11], 0 offen offset:128   // 000000006EFC: E0701080 80026706
	s_mov_b64 exec, s[36:37]                                   // 000000006F04: BEFE0124
	v_mov_b32_e32 v6, v72                                      // 000000006F08: 7E0C0348
	s_mov_b64 s[60:61], 0                                      // 000000006F0C: BEBC0180
	v_readlane_b32 s82, v3, 24                                 // 000000006F10: D2890052 00013103
	s_and_b32 s82, s82, 0xffffff                               // 000000006F18: 8652FF52 00FFFFFF
	s_cmp_lt_u32 s82, s66                                      // 000000006F20: BF0A4252
	s_cselect_b32 s20, s36, s60                                // 000000006F24: 85143C24
	v_readlane_b32 s82, v3, 25                                 // 000000006F28: D2890052 00013303
	s_and_b32 s82, s82, 0xffffff                               // 000000006F30: 8652FF52 00FFFFFF
	s_cmp_lt_u32 s82, s66                                      // 000000006F38: BF0A4252
	s_cselect_b32 s21, s36, s60                                // 000000006F3C: 85153C24
	s_mov_b64 exec, s[20:21]                                   // 000000006F40: BEFE0114
	buffer_store_dword v104, v6, s[8:11], 0 offen              // 000000006F44: E0701000 80026806
	buffer_store_dword v106, v6, s[8:11], 0 offen offset:128   // 000000006F4C: E0701080 80026A06
	s_mov_b64 exec, s[36:37]                                   // 000000006F54: BEFE0124
	v_mov_b32_e32 v6, v73                                      // 000000006F58: 7E0C0349
	s_mov_b64 s[60:61], 0                                      // 000000006F5C: BEBC0180
	v_readlane_b32 s82, v3, 26                                 // 000000006F60: D2890052 00013503
	s_and_b32 s82, s82, 0xffffff                               // 000000006F68: 8652FF52 00FFFFFF
	s_cmp_lt_u32 s82, s66                                      // 000000006F70: BF0A4252
	s_cselect_b32 s20, s36, s60                                // 000000006F74: 85143C24
	v_readlane_b32 s82, v3, 27                                 // 000000006F78: D2890052 00013703
	s_and_b32 s82, s82, 0xffffff                               // 000000006F80: 8652FF52 00FFFFFF
	s_cmp_lt_u32 s82, s66                                      // 000000006F88: BF0A4252
	s_cselect_b32 s21, s36, s60                                // 000000006F8C: 85153C24
	s_mov_b64 exec, s[20:21]                                   // 000000006F90: BEFE0114
	buffer_store_dword v105, v6, s[8:11], 0 offen              // 000000006F94: E0701000 80026906
	buffer_store_dword v107, v6, s[8:11], 0 offen offset:128   // 000000006F9C: E0701080 80026B06
	s_mov_b64 exec, s[36:37]                                   // 000000006FA4: BEFE0124
	v_mov_b32_e32 v6, v74                                      // 000000006FA8: 7E0C034A
	s_mov_b64 s[60:61], 0                                      // 000000006FAC: BEBC0180
	v_readlane_b32 s82, v3, 28                                 // 000000006FB0: D2890052 00013903
	s_and_b32 s82, s82, 0xffffff                               // 000000006FB8: 8652FF52 00FFFFFF
	s_cmp_lt_u32 s82, s66                                      // 000000006FC0: BF0A4252
	s_cselect_b32 s20, s36, s60                                // 000000006FC4: 85143C24
	v_readlane_b32 s82, v3, 29                                 // 000000006FC8: D2890052 00013B03
	s_and_b32 s82, s82, 0xffffff                               // 000000006FD0: 8652FF52 00FFFFFF
	s_cmp_lt_u32 s82, s66                                      // 000000006FD8: BF0A4252
	s_cselect_b32 s21, s36, s60                                // 000000006FDC: 85153C24
	s_mov_b64 exec, s[20:21]                                   // 000000006FE0: BEFE0114
	buffer_store_dword v108, v6, s[8:11], 0 offen              // 000000006FE4: E0701000 80026C06
	buffer_store_dword v110, v6, s[8:11], 0 offen offset:128   // 000000006FEC: E0701080 80026E06
	s_mov_b64 exec, s[36:37]                                   // 000000006FF4: BEFE0124
	v_mov_b32_e32 v6, v75                                      // 000000006FF8: 7E0C034B
	s_mov_b64 s[60:61], 0                                      // 000000006FFC: BEBC0180
	v_readlane_b32 s82, v3, 30                                 // 000000007000: D2890052 00013D03
	s_and_b32 s82, s82, 0xffffff                               // 000000007008: 8652FF52 00FFFFFF
	s_cmp_lt_u32 s82, s66                                      // 000000007010: BF0A4252
	s_cselect_b32 s20, s36, s60                                // 000000007014: 85143C24
	v_readlane_b32 s82, v3, 31                                 // 000000007018: D2890052 00013F03
	s_and_b32 s82, s82, 0xffffff                               // 000000007020: 8652FF52 00FFFFFF
	s_cmp_lt_u32 s82, s66                                      // 000000007028: BF0A4252
	s_cselect_b32 s21, s36, s60                                // 00000000702C: 85153C24
	s_mov_b64 exec, s[20:21]                                   // 000000007030: BEFE0114
	buffer_store_dword v109, v6, s[8:11], 0 offen              // 000000007034: E0701000 80026D06
	buffer_store_dword v111, v6, s[8:11], 0 offen offset:128   // 00000000703C: E0701080 80026F06
	s_mov_b64 exec, s[36:37]                                   // 000000007044: BEFE0124
	s_branch label_2FAE                                        // 000000007048: BF821E18

000000000000704c <label_1193>:
	ds_write_b64 v20, v[80:81]                                 // 00000000704C: D89A0000 00005014
	ds_write_b64 v20, v[84:85] offset:4352                     // 000000007054: D89A1100 00005414
	ds_write_b64 v20, v[88:89] offset:8704                     // 00000000705C: D89A2200 00005814
	ds_write_b64 v20, v[92:93] offset:13056                    // 000000007064: D89A3300 00005C14
	ds_write_b64 v20, v[96:97] offset:17408                    // 00000000706C: D89A4400 00006014
	ds_write_b64 v20, v[100:101] offset:21760                  // 000000007074: D89A5500 00006414
	ds_write_b64 v20, v[104:105] offset:26112                  // 00000000707C: D89A6600 00006814
	ds_write_b64 v20, v[108:109] offset:30464                  // 000000007084: D89A7700 00006C14
	ds_write_b64 v20, v[112:113] offset:2176                   // 00000000708C: D89A0880 00007014
	ds_write_b64 v20, v[116:117] offset:6528                   // 000000007094: D89A1980 00007414
	ds_write_b64 v20, v[120:121] offset:10880                  // 00000000709C: D89A2A80 00007814
	ds_write_b64 v20, v[124:125] offset:15232                  // 0000000070A4: D89A3B80 00007C14
	ds_write_b64 v20, v[128:129] offset:19584                  // 0000000070AC: D89A4C80 00008014
	ds_write_b64 v20, v[132:133] offset:23936                  // 0000000070B4: D89A5D80 00008414
	ds_write_b64 v20, v[136:137] offset:28288                  // 0000000070BC: D89A6E80 00008814
	ds_write_b64 v20, v[140:141] offset:32640                  // 0000000070C4: D89A7F80 00008C14
	v_lshrrev_b32_e32 v4, 5, v0                                // 0000000070CC: 20080085
	v_xor_b32_e32 v5, 1, v4                                    // 0000000070D0: 2A0A0881
	s_mul_i32 s60, s65, 2                                      // 0000000070D4: 923C8241
	s_cmp_eq_u32 s88, 0                                        // 0000000070D8: BF068058
	s_cselect_b32 s61, 1, 4                                    // 0000000070DC: 853D8481
	s_mul_i32 s60, s61, s60                                    // 0000000070E0: 923C3C3D
	v_readlane_b32 s82, v3, 0                                  // 0000000070E4: D2890052 00010103
	s_lshr_b32 s61, s82, 24                                    // 0000000070EC: 8F3D9852
	s_and_b32 s82, s82, 0xffffff                               // 0000000070F0: 8652FF52 00FFFFFF
	s_mul_i32 s82, s82, s71                                    // 0000000070F8: 92524752
	s_mul_i32 s61, s60, s61                                    // 0000000070FC: 923D3D3C
	s_add_u32 s82, s82, s61                                    // 000000007100: 80523D52
	v_mul_lo_u32 v6, v5, s82                                   // 000000007104: D2850006 0000A505
	v_readlane_b32 s82, v3, 1                                  // 00000000710C: D2890052 00010303
	s_lshr_b32 s61, s82, 24                                    // 000000007114: 8F3D9852
	s_and_b32 s82, s82, 0xffffff                               // 000000007118: 8652FF52 00FFFFFF
	s_mul_i32 s82, s82, s71                                    // 000000007120: 92524752
	s_mul_i32 s61, s60, s61                                    // 000000007124: 923D3D3C
	s_add_u32 s82, s82, s61                                    // 000000007128: 80523D52
	v_mul_lo_u32 v7, v4, s82                                   // 00000000712C: D2850007 0000A504
	v_add_u32_e32 v60, v6, v7                                  // 000000007134: 68780F06
	v_readlane_b32 s82, v3, 2                                  // 000000007138: D2890052 00010503
	s_lshr_b32 s61, s82, 24                                    // 000000007140: 8F3D9852
	s_and_b32 s82, s82, 0xffffff                               // 000000007144: 8652FF52 00FFFFFF
	s_mul_i32 s82, s82, s71                                    // 00000000714C: 92524752
	s_mul_i32 s61, s60, s61                                    // 000000007150: 923D3D3C
	s_add_u32 s82, s82, s61                                    // 000000007154: 80523D52
	v_mul_lo_u32 v6, v5, s82                                   // 000000007158: D2850006 0000A505
	v_readlane_b32 s82, v3, 3                                  // 000000007160: D2890052 00010703
	s_lshr_b32 s61, s82, 24                                    // 000000007168: 8F3D9852
	s_and_b32 s82, s82, 0xffffff                               // 00000000716C: 8652FF52 00FFFFFF
	s_mul_i32 s82, s82, s71                                    // 000000007174: 92524752
	s_mul_i32 s61, s60, s61                                    // 000000007178: 923D3D3C
	s_add_u32 s82, s82, s61                                    // 00000000717C: 80523D52
	v_mul_lo_u32 v7, v4, s82                                   // 000000007180: D2850007 0000A504
	v_add_u32_e32 v61, v6, v7                                  // 000000007188: 687A0F06
	v_readlane_b32 s82, v3, 4                                  // 00000000718C: D2890052 00010903
	s_lshr_b32 s61, s82, 24                                    // 000000007194: 8F3D9852
	s_and_b32 s82, s82, 0xffffff                               // 000000007198: 8652FF52 00FFFFFF
	s_mul_i32 s82, s82, s71                                    // 0000000071A0: 92524752
	s_mul_i32 s61, s60, s61                                    // 0000000071A4: 923D3D3C
	s_add_u32 s82, s82, s61                                    // 0000000071A8: 80523D52
	v_mul_lo_u32 v6, v5, s82                                   // 0000000071AC: D2850006 0000A505
	v_readlane_b32 s82, v3, 5                                  // 0000000071B4: D2890052 00010B03
	s_lshr_b32 s61, s82, 24                                    // 0000000071BC: 8F3D9852
	s_and_b32 s82, s82, 0xffffff                               // 0000000071C0: 8652FF52 00FFFFFF
	s_mul_i32 s82, s82, s71                                    // 0000000071C8: 92524752
	s_mul_i32 s61, s60, s61                                    // 0000000071CC: 923D3D3C
	s_add_u32 s82, s82, s61                                    // 0000000071D0: 80523D52
	v_mul_lo_u32 v7, v4, s82                                   // 0000000071D4: D2850007 0000A504
	v_add_u32_e32 v62, v6, v7                                  // 0000000071DC: 687C0F06
	v_readlane_b32 s82, v3, 6                                  // 0000000071E0: D2890052 00010D03
	s_lshr_b32 s61, s82, 24                                    // 0000000071E8: 8F3D9852
	s_and_b32 s82, s82, 0xffffff                               // 0000000071EC: 8652FF52 00FFFFFF
	s_mul_i32 s82, s82, s71                                    // 0000000071F4: 92524752
	s_mul_i32 s61, s60, s61                                    // 0000000071F8: 923D3D3C
	s_add_u32 s82, s82, s61                                    // 0000000071FC: 80523D52
	v_mul_lo_u32 v6, v5, s82                                   // 000000007200: D2850006 0000A505
	v_readlane_b32 s82, v3, 7                                  // 000000007208: D2890052 00010F03
	s_lshr_b32 s61, s82, 24                                    // 000000007210: 8F3D9852
	s_and_b32 s82, s82, 0xffffff                               // 000000007214: 8652FF52 00FFFFFF
	s_mul_i32 s82, s82, s71                                    // 00000000721C: 92524752
	s_mul_i32 s61, s60, s61                                    // 000000007220: 923D3D3C
	s_add_u32 s82, s82, s61                                    // 000000007224: 80523D52
	v_mul_lo_u32 v7, v4, s82                                   // 000000007228: D2850007 0000A504
	v_add_u32_e32 v63, v6, v7                                  // 000000007230: 687E0F06
	v_readlane_b32 s82, v3, 8                                  // 000000007234: D2890052 00011103
	s_lshr_b32 s61, s82, 24                                    // 00000000723C: 8F3D9852
	s_and_b32 s82, s82, 0xffffff                               // 000000007240: 8652FF52 00FFFFFF
	s_mul_i32 s82, s82, s71                                    // 000000007248: 92524752
	s_mul_i32 s61, s60, s61                                    // 00000000724C: 923D3D3C
	s_add_u32 s82, s82, s61                                    // 000000007250: 80523D52
	v_mul_lo_u32 v6, v5, s82                                   // 000000007254: D2850006 0000A505
	v_readlane_b32 s82, v3, 9                                  // 00000000725C: D2890052 00011303
	s_lshr_b32 s61, s82, 24                                    // 000000007264: 8F3D9852
	s_and_b32 s82, s82, 0xffffff                               // 000000007268: 8652FF52 00FFFFFF
	s_mul_i32 s82, s82, s71                                    // 000000007270: 92524752
	s_mul_i32 s61, s60, s61                                    // 000000007274: 923D3D3C
	s_add_u32 s82, s82, s61                                    // 000000007278: 80523D52
	v_mul_lo_u32 v7, v4, s82                                   // 00000000727C: D2850007 0000A504
	v_add_u32_e32 v64, v6, v7                                  // 000000007284: 68800F06
	v_readlane_b32 s82, v3, 10                                 // 000000007288: D2890052 00011503
	s_lshr_b32 s61, s82, 24                                    // 000000007290: 8F3D9852
	s_and_b32 s82, s82, 0xffffff                               // 000000007294: 8652FF52 00FFFFFF
	s_mul_i32 s82, s82, s71                                    // 00000000729C: 92524752
	s_mul_i32 s61, s60, s61                                    // 0000000072A0: 923D3D3C
	s_add_u32 s82, s82, s61                                    // 0000000072A4: 80523D52
	v_mul_lo_u32 v6, v5, s82                                   // 0000000072A8: D2850006 0000A505
	v_readlane_b32 s82, v3, 11                                 // 0000000072B0: D2890052 00011703
	s_lshr_b32 s61, s82, 24                                    // 0000000072B8: 8F3D9852
	s_and_b32 s82, s82, 0xffffff                               // 0000000072BC: 8652FF52 00FFFFFF
	s_mul_i32 s82, s82, s71                                    // 0000000072C4: 92524752
	s_mul_i32 s61, s60, s61                                    // 0000000072C8: 923D3D3C
	s_add_u32 s82, s82, s61                                    // 0000000072CC: 80523D52
	v_mul_lo_u32 v7, v4, s82                                   // 0000000072D0: D2850007 0000A504
	v_add_u32_e32 v65, v6, v7                                  // 0000000072D8: 68820F06
	v_readlane_b32 s82, v3, 12                                 // 0000000072DC: D2890052 00011903
	s_lshr_b32 s61, s82, 24                                    // 0000000072E4: 8F3D9852
	s_and_b32 s82, s82, 0xffffff                               // 0000000072E8: 8652FF52 00FFFFFF
	s_mul_i32 s82, s82, s71                                    // 0000000072F0: 92524752
	s_mul_i32 s61, s60, s61                                    // 0000000072F4: 923D3D3C
	s_add_u32 s82, s82, s61                                    // 0000000072F8: 80523D52
	v_mul_lo_u32 v6, v5, s82                                   // 0000000072FC: D2850006 0000A505
	v_readlane_b32 s82, v3, 13                                 // 000000007304: D2890052 00011B03
	s_lshr_b32 s61, s82, 24                                    // 00000000730C: 8F3D9852
	s_and_b32 s82, s82, 0xffffff                               // 000000007310: 8652FF52 00FFFFFF
	s_mul_i32 s82, s82, s71                                    // 000000007318: 92524752
	s_mul_i32 s61, s60, s61                                    // 00000000731C: 923D3D3C
	s_add_u32 s82, s82, s61                                    // 000000007320: 80523D52
	v_mul_lo_u32 v7, v4, s82                                   // 000000007324: D2850007 0000A504
	v_add_u32_e32 v66, v6, v7                                  // 00000000732C: 68840F06
	v_readlane_b32 s82, v3, 14                                 // 000000007330: D2890052 00011D03
	s_lshr_b32 s61, s82, 24                                    // 000000007338: 8F3D9852
	s_and_b32 s82, s82, 0xffffff                               // 00000000733C: 8652FF52 00FFFFFF
	s_mul_i32 s82, s82, s71                                    // 000000007344: 92524752
	s_mul_i32 s61, s60, s61                                    // 000000007348: 923D3D3C
	s_add_u32 s82, s82, s61                                    // 00000000734C: 80523D52
	v_mul_lo_u32 v6, v5, s82                                   // 000000007350: D2850006 0000A505
	v_readlane_b32 s82, v3, 15                                 // 000000007358: D2890052 00011F03
	s_lshr_b32 s61, s82, 24                                    // 000000007360: 8F3D9852
	s_and_b32 s82, s82, 0xffffff                               // 000000007364: 8652FF52 00FFFFFF
	s_mul_i32 s82, s82, s71                                    // 00000000736C: 92524752
	s_mul_i32 s61, s60, s61                                    // 000000007370: 923D3D3C
	s_add_u32 s82, s82, s61                                    // 000000007374: 80523D52
	v_mul_lo_u32 v7, v4, s82                                   // 000000007378: D2850007 0000A504
	v_add_u32_e32 v67, v6, v7                                  // 000000007380: 68860F06
	v_readlane_b32 s82, v3, 16                                 // 000000007384: D2890052 00012103
	s_lshr_b32 s61, s82, 24                                    // 00000000738C: 8F3D9852
	s_and_b32 s82, s82, 0xffffff                               // 000000007390: 8652FF52 00FFFFFF
	s_mul_i32 s82, s82, s71                                    // 000000007398: 92524752
	s_mul_i32 s61, s60, s61                                    // 00000000739C: 923D3D3C
	s_add_u32 s82, s82, s61                                    // 0000000073A0: 80523D52
	v_mul_lo_u32 v6, v5, s82                                   // 0000000073A4: D2850006 0000A505
	v_readlane_b32 s82, v3, 17                                 // 0000000073AC: D2890052 00012303
	s_lshr_b32 s61, s82, 24                                    // 0000000073B4: 8F3D9852
	s_and_b32 s82, s82, 0xffffff                               // 0000000073B8: 8652FF52 00FFFFFF
	s_mul_i32 s82, s82, s71                                    // 0000000073C0: 92524752
	s_mul_i32 s61, s60, s61                                    // 0000000073C4: 923D3D3C
	s_add_u32 s82, s82, s61                                    // 0000000073C8: 80523D52
	v_mul_lo_u32 v7, v4, s82                                   // 0000000073CC: D2850007 0000A504
	v_add_u32_e32 v68, v6, v7                                  // 0000000073D4: 68880F06
	v_readlane_b32 s82, v3, 18                                 // 0000000073D8: D2890052 00012503
	s_lshr_b32 s61, s82, 24                                    // 0000000073E0: 8F3D9852
	s_and_b32 s82, s82, 0xffffff                               // 0000000073E4: 8652FF52 00FFFFFF
	s_mul_i32 s82, s82, s71                                    // 0000000073EC: 92524752
	s_mul_i32 s61, s60, s61                                    // 0000000073F0: 923D3D3C
	s_add_u32 s82, s82, s61                                    // 0000000073F4: 80523D52
	v_mul_lo_u32 v6, v5, s82                                   // 0000000073F8: D2850006 0000A505
	v_readlane_b32 s82, v3, 19                                 // 000000007400: D2890052 00012703
	s_lshr_b32 s61, s82, 24                                    // 000000007408: 8F3D9852
	s_and_b32 s82, s82, 0xffffff                               // 00000000740C: 8652FF52 00FFFFFF
	s_mul_i32 s82, s82, s71                                    // 000000007414: 92524752
	s_mul_i32 s61, s60, s61                                    // 000000007418: 923D3D3C
	s_add_u32 s82, s82, s61                                    // 00000000741C: 80523D52
	v_mul_lo_u32 v7, v4, s82                                   // 000000007420: D2850007 0000A504
	v_add_u32_e32 v69, v6, v7                                  // 000000007428: 688A0F06
	v_readlane_b32 s82, v3, 20                                 // 00000000742C: D2890052 00012903
	s_lshr_b32 s61, s82, 24                                    // 000000007434: 8F3D9852
	s_and_b32 s82, s82, 0xffffff                               // 000000007438: 8652FF52 00FFFFFF
	s_mul_i32 s82, s82, s71                                    // 000000007440: 92524752
	s_mul_i32 s61, s60, s61                                    // 000000007444: 923D3D3C
	s_add_u32 s82, s82, s61                                    // 000000007448: 80523D52
	v_mul_lo_u32 v6, v5, s82                                   // 00000000744C: D2850006 0000A505
	v_readlane_b32 s82, v3, 21                                 // 000000007454: D2890052 00012B03
	s_lshr_b32 s61, s82, 24                                    // 00000000745C: 8F3D9852
	s_and_b32 s82, s82, 0xffffff                               // 000000007460: 8652FF52 00FFFFFF
	s_mul_i32 s82, s82, s71                                    // 000000007468: 92524752
	s_mul_i32 s61, s60, s61                                    // 00000000746C: 923D3D3C
	s_add_u32 s82, s82, s61                                    // 000000007470: 80523D52
	v_mul_lo_u32 v7, v4, s82                                   // 000000007474: D2850007 0000A504
	v_add_u32_e32 v70, v6, v7                                  // 00000000747C: 688C0F06
	v_readlane_b32 s82, v3, 22                                 // 000000007480: D2890052 00012D03
	s_lshr_b32 s61, s82, 24                                    // 000000007488: 8F3D9852
	s_and_b32 s82, s82, 0xffffff                               // 00000000748C: 8652FF52 00FFFFFF
	s_mul_i32 s82, s82, s71                                    // 000000007494: 92524752
	s_mul_i32 s61, s60, s61                                    // 000000007498: 923D3D3C
	s_add_u32 s82, s82, s61                                    // 00000000749C: 80523D52
	v_mul_lo_u32 v6, v5, s82                                   // 0000000074A0: D2850006 0000A505
	v_readlane_b32 s82, v3, 23                                 // 0000000074A8: D2890052 00012F03
	s_lshr_b32 s61, s82, 24                                    // 0000000074B0: 8F3D9852
	s_and_b32 s82, s82, 0xffffff                               // 0000000074B4: 8652FF52 00FFFFFF
	s_mul_i32 s82, s82, s71                                    // 0000000074BC: 92524752
	s_mul_i32 s61, s60, s61                                    // 0000000074C0: 923D3D3C
	s_add_u32 s82, s82, s61                                    // 0000000074C4: 80523D52
	v_mul_lo_u32 v7, v4, s82                                   // 0000000074C8: D2850007 0000A504
	v_add_u32_e32 v71, v6, v7                                  // 0000000074D0: 688E0F06
	v_readlane_b32 s82, v3, 24                                 // 0000000074D4: D2890052 00013103
	s_lshr_b32 s61, s82, 24                                    // 0000000074DC: 8F3D9852
	s_and_b32 s82, s82, 0xffffff                               // 0000000074E0: 8652FF52 00FFFFFF
	s_mul_i32 s82, s82, s71                                    // 0000000074E8: 92524752
	s_mul_i32 s61, s60, s61                                    // 0000000074EC: 923D3D3C
	s_add_u32 s82, s82, s61                                    // 0000000074F0: 80523D52
	v_mul_lo_u32 v6, v5, s82                                   // 0000000074F4: D2850006 0000A505
	v_readlane_b32 s82, v3, 25                                 // 0000000074FC: D2890052 00013303
	s_lshr_b32 s61, s82, 24                                    // 000000007504: 8F3D9852
	s_and_b32 s82, s82, 0xffffff                               // 000000007508: 8652FF52 00FFFFFF
	s_mul_i32 s82, s82, s71                                    // 000000007510: 92524752
	s_mul_i32 s61, s60, s61                                    // 000000007514: 923D3D3C
	s_add_u32 s82, s82, s61                                    // 000000007518: 80523D52
	v_mul_lo_u32 v7, v4, s82                                   // 00000000751C: D2850007 0000A504
	v_add_u32_e32 v72, v6, v7                                  // 000000007524: 68900F06
	v_readlane_b32 s82, v3, 26                                 // 000000007528: D2890052 00013503
	s_lshr_b32 s61, s82, 24                                    // 000000007530: 8F3D9852
	s_and_b32 s82, s82, 0xffffff                               // 000000007534: 8652FF52 00FFFFFF
	s_mul_i32 s82, s82, s71                                    // 00000000753C: 92524752
	s_mul_i32 s61, s60, s61                                    // 000000007540: 923D3D3C
	s_add_u32 s82, s82, s61                                    // 000000007544: 80523D52
	v_mul_lo_u32 v6, v5, s82                                   // 000000007548: D2850006 0000A505
	v_readlane_b32 s82, v3, 27                                 // 000000007550: D2890052 00013703
	s_lshr_b32 s61, s82, 24                                    // 000000007558: 8F3D9852
	s_and_b32 s82, s82, 0xffffff                               // 00000000755C: 8652FF52 00FFFFFF
	s_mul_i32 s82, s82, s71                                    // 000000007564: 92524752
	s_mul_i32 s61, s60, s61                                    // 000000007568: 923D3D3C
	s_add_u32 s82, s82, s61                                    // 00000000756C: 80523D52
	v_mul_lo_u32 v7, v4, s82                                   // 000000007570: D2850007 0000A504
	v_add_u32_e32 v73, v6, v7                                  // 000000007578: 68920F06
	v_readlane_b32 s82, v3, 28                                 // 00000000757C: D2890052 00013903
	s_lshr_b32 s61, s82, 24                                    // 000000007584: 8F3D9852
	s_and_b32 s82, s82, 0xffffff                               // 000000007588: 8652FF52 00FFFFFF
	s_mul_i32 s82, s82, s71                                    // 000000007590: 92524752
	s_mul_i32 s61, s60, s61                                    // 000000007594: 923D3D3C
	s_add_u32 s82, s82, s61                                    // 000000007598: 80523D52
	v_mul_lo_u32 v6, v5, s82                                   // 00000000759C: D2850006 0000A505
	v_readlane_b32 s82, v3, 29                                 // 0000000075A4: D2890052 00013B03
	s_lshr_b32 s61, s82, 24                                    // 0000000075AC: 8F3D9852
	s_and_b32 s82, s82, 0xffffff                               // 0000000075B0: 8652FF52 00FFFFFF
	s_mul_i32 s82, s82, s71                                    // 0000000075B8: 92524752
	s_mul_i32 s61, s60, s61                                    // 0000000075BC: 923D3D3C
	s_add_u32 s82, s82, s61                                    // 0000000075C0: 80523D52
	v_mul_lo_u32 v7, v4, s82                                   // 0000000075C4: D2850007 0000A504
	v_add_u32_e32 v74, v6, v7                                  // 0000000075CC: 68940F06
	v_readlane_b32 s82, v3, 30                                 // 0000000075D0: D2890052 00013D03
	s_lshr_b32 s61, s82, 24                                    // 0000000075D8: 8F3D9852
	s_and_b32 s82, s82, 0xffffff                               // 0000000075DC: 8652FF52 00FFFFFF
	s_mul_i32 s82, s82, s71                                    // 0000000075E4: 92524752
	s_mul_i32 s61, s60, s61                                    // 0000000075E8: 923D3D3C
	s_add_u32 s82, s82, s61                                    // 0000000075EC: 80523D52
	v_mul_lo_u32 v6, v5, s82                                   // 0000000075F0: D2850006 0000A505
	v_readlane_b32 s82, v3, 31                                 // 0000000075F8: D2890052 00013F03
	s_lshr_b32 s61, s82, 24                                    // 000000007600: 8F3D9852
	s_and_b32 s82, s82, 0xffffff                               // 000000007604: 8652FF52 00FFFFFF
	s_mul_i32 s82, s82, s71                                    // 00000000760C: 92524752
	s_mul_i32 s61, s60, s61                                    // 000000007610: 923D3D3C
	s_add_u32 s82, s82, s61                                    // 000000007614: 80523D52
	v_mul_lo_u32 v7, v4, s82                                   // 000000007618: D2850007 0000A504
	v_add_u32_e32 v75, v6, v7                                  // 000000007620: 68960F06
	v_and_b32_e32 v4, 31, v0                                   // 000000007624: 2608009F
	v_lshrrev_b32_e32 v4, 1, v4                                // 000000007628: 20080881
	s_cmp_eq_u32 s88, 0                                        // 00000000762C: BF068058
	s_cselect_b32 s61, 2, 4                                    // 000000007630: 853D8482
	v_mul_lo_u32 v4, v4, s61                                   // 000000007634: D2850004 00007B04
	v_and_b32_e64 v5, v0, 1                                    // 00000000763C: D1130005 00010300
	v_add_u32_e32 v4, v4, v5                                   // 000000007644: 68080B04
	v_lshlrev_b32_e32 v4, 2, v4                                // 000000007648: 24080882
	v_add_u32_e32 v60, v60, v4                                 // 00000000764C: 6878093C
	v_add_u32_e32 v61, v61, v4                                 // 000000007650: 687A093D
	v_add_u32_e32 v62, v62, v4                                 // 000000007654: 687C093E
	v_add_u32_e32 v63, v63, v4                                 // 000000007658: 687E093F
	v_add_u32_e32 v64, v64, v4                                 // 00000000765C: 68800940
	v_add_u32_e32 v65, v65, v4                                 // 000000007660: 68820941
	v_add_u32_e32 v66, v66, v4                                 // 000000007664: 68840942
	;; [unrolled: 1-line block ×3, first 2 shown]
	v_add_u32_e32 v68, v68, v4                                 // 00000000766C: 68880944
	v_add_u32_e32 v69, v69, v4                                 // 000000007670: 688A0945
	v_add_u32_e32 v70, v70, v4                                 // 000000007674: 688C0946
	v_add_u32_e32 v71, v71, v4                                 // 000000007678: 688E0947
	v_add_u32_e32 v72, v72, v4                                 // 00000000767C: 68900948
	v_add_u32_e32 v73, v73, v4                                 // 000000007680: 68920949
	v_add_u32_e32 v74, v74, v4                                 // 000000007684: 6894094A
	v_add_u32_e32 v75, v75, v4                                 // 000000007688: 6896094B
	s_waitcnt lgkmcnt(0)                                       // 00000000768C: BF8CC07F
	s_barrier                                                  // 000000007690: BF8A0000
	ds_read_b32 v80, v21                                       // 000000007694: D86C0000 50000015
	ds_read_b32 v81, v21 offset:64                             // 00000000769C: D86C0040 51000015
	ds_read_b32 v84, v21 offset:2176                           // 0000000076A4: D86C0880 54000015
	ds_read_b32 v85, v21 offset:2240                           // 0000000076AC: D86C08C0 55000015
	ds_read_b32 v88, v21 offset:4352                           // 0000000076B4: D86C1100 58000015
	ds_read_b32 v89, v21 offset:4416                           // 0000000076BC: D86C1140 59000015
	ds_read_b32 v92, v21 offset:6528                           // 0000000076C4: D86C1980 5C000015
	ds_read_b32 v93, v21 offset:6592                           // 0000000076CC: D86C19C0 5D000015
	ds_read_b32 v96, v21 offset:8704                           // 0000000076D4: D86C2200 60000015
	ds_read_b32 v97, v21 offset:8768                           // 0000000076DC: D86C2240 61000015
	ds_read_b32 v100, v21 offset:10880                         // 0000000076E4: D86C2A80 64000015
	ds_read_b32 v101, v21 offset:10944                         // 0000000076EC: D86C2AC0 65000015
	ds_read_b32 v104, v21 offset:13056                         // 0000000076F4: D86C3300 68000015
	ds_read_b32 v105, v21 offset:13120                         // 0000000076FC: D86C3340 69000015
	ds_read_b32 v108, v21 offset:15232                         // 000000007704: D86C3B80 6C000015
	ds_read_b32 v109, v21 offset:15296                         // 00000000770C: D86C3BC0 6D000015
	ds_read_b32 v112, v21 offset:17408                         // 000000007714: D86C4400 70000015
	ds_read_b32 v113, v21 offset:17472                         // 00000000771C: D86C4440 71000015
	ds_read_b32 v116, v21 offset:19584                         // 000000007724: D86C4C80 74000015
	ds_read_b32 v117, v21 offset:19648                         // 00000000772C: D86C4CC0 75000015
	ds_read_b32 v120, v21 offset:21760                         // 000000007734: D86C5500 78000015
	ds_read_b32 v121, v21 offset:21824                         // 00000000773C: D86C5540 79000015
	ds_read_b32 v124, v21 offset:23936                         // 000000007744: D86C5D80 7C000015
	ds_read_b32 v125, v21 offset:24000                         // 00000000774C: D86C5DC0 7D000015
	ds_read_b32 v128, v21 offset:26112                         // 000000007754: D86C6600 80000015
	ds_read_b32 v129, v21 offset:26176                         // 00000000775C: D86C6640 81000015
	ds_read_b32 v132, v21 offset:28288                         // 000000007764: D86C6E80 84000015
	ds_read_b32 v133, v21 offset:28352                         // 00000000776C: D86C6EC0 85000015
	ds_read_b32 v136, v21 offset:30464                         // 000000007774: D86C7700 88000015
	ds_read_b32 v137, v21 offset:30528                         // 00000000777C: D86C7740 89000015
	ds_read_b32 v140, v21 offset:32640                         // 000000007784: D86C7F80 8C000015
	ds_read_b32 v141, v21 offset:32704                         // 00000000778C: D86C7FC0 8D000015
	s_waitcnt lgkmcnt(0)                                       // 000000007794: BF8CC07F
	s_mov_b32 s36, -1                                          // 000000007798: BEA400C1
	s_mov_b32 s37, -1                                          // 00000000779C: BEA500C1
	v_mov_b32_e32 v7, 0                                        // 0000000077A0: 7E0E0280
	s_mov_b64 exec, s[36:37]                                   // 0000000077A4: BEFE0124
	v_mov_b32_e32 v6, v60                                      // 0000000077A8: 7E0C033C
	s_mov_b64 s[60:61], 0                                      // 0000000077AC: BEBC0180
	v_readlane_b32 s82, v3, 0                                  // 0000000077B0: D2890052 00010103
	s_and_b32 s82, s82, 0xffffff                               // 0000000077B8: 8652FF52 00FFFFFF
	s_cmp_lt_u32 s82, s66                                      // 0000000077C0: BF0A4252
	s_cselect_b32 s20, s36, s60                                // 0000000077C4: 85143C24
	v_readlane_b32 s82, v3, 1                                  // 0000000077C8: D2890052 00010303
	s_and_b32 s82, s82, 0xffffff                               // 0000000077D0: 8652FF52 00FFFFFF
	s_cmp_lt_u32 s82, s66                                      // 0000000077D8: BF0A4252
	s_cselect_b32 s21, s36, s60                                // 0000000077DC: 85153C24
	s_mov_b64 exec, s[20:21]                                   // 0000000077E0: BEFE0114
	global_atomic_add_f32 v6, v80, s[8:9]                      // 0000000077E4: DD348000 00085006
	global_atomic_add_f32 v6, v84, s[8:9] offset:256           // 0000000077EC: DD348100 00085406
	s_mov_b64 exec, s[36:37]                                   // 0000000077F4: BEFE0124
	v_mov_b32_e32 v6, v61                                      // 0000000077F8: 7E0C033D
	s_mov_b64 s[60:61], 0                                      // 0000000077FC: BEBC0180
	v_readlane_b32 s82, v3, 2                                  // 000000007800: D2890052 00010503
	s_and_b32 s82, s82, 0xffffff                               // 000000007808: 8652FF52 00FFFFFF
	s_cmp_lt_u32 s82, s66                                      // 000000007810: BF0A4252
	s_cselect_b32 s20, s36, s60                                // 000000007814: 85143C24
	v_readlane_b32 s82, v3, 3                                  // 000000007818: D2890052 00010703
	s_and_b32 s82, s82, 0xffffff                               // 000000007820: 8652FF52 00FFFFFF
	s_cmp_lt_u32 s82, s66                                      // 000000007828: BF0A4252
	s_cselect_b32 s21, s36, s60                                // 00000000782C: 85153C24
	s_mov_b64 exec, s[20:21]                                   // 000000007830: BEFE0114
	global_atomic_add_f32 v6, v81, s[8:9]                      // 000000007834: DD348000 00085106
	global_atomic_add_f32 v6, v85, s[8:9] offset:256           // 00000000783C: DD348100 00085506
	s_mov_b64 exec, s[36:37]                                   // 000000007844: BEFE0124
	v_mov_b32_e32 v6, v62                                      // 000000007848: 7E0C033E
	s_mov_b64 s[60:61], 0                                      // 00000000784C: BEBC0180
	v_readlane_b32 s82, v3, 4                                  // 000000007850: D2890052 00010903
	s_and_b32 s82, s82, 0xffffff                               // 000000007858: 8652FF52 00FFFFFF
	s_cmp_lt_u32 s82, s66                                      // 000000007860: BF0A4252
	s_cselect_b32 s20, s36, s60                                // 000000007864: 85143C24
	v_readlane_b32 s82, v3, 5                                  // 000000007868: D2890052 00010B03
	s_and_b32 s82, s82, 0xffffff                               // 000000007870: 8652FF52 00FFFFFF
	s_cmp_lt_u32 s82, s66                                      // 000000007878: BF0A4252
	s_cselect_b32 s21, s36, s60                                // 00000000787C: 85153C24
	s_mov_b64 exec, s[20:21]                                   // 000000007880: BEFE0114
	global_atomic_add_f32 v6, v88, s[8:9]                      // 000000007884: DD348000 00085806
	global_atomic_add_f32 v6, v92, s[8:9] offset:256           // 00000000788C: DD348100 00085C06
	s_mov_b64 exec, s[36:37]                                   // 000000007894: BEFE0124
	v_mov_b32_e32 v6, v63                                      // 000000007898: 7E0C033F
	s_mov_b64 s[60:61], 0                                      // 00000000789C: BEBC0180
	v_readlane_b32 s82, v3, 6                                  // 0000000078A0: D2890052 00010D03
	s_and_b32 s82, s82, 0xffffff                               // 0000000078A8: 8652FF52 00FFFFFF
	s_cmp_lt_u32 s82, s66                                      // 0000000078B0: BF0A4252
	s_cselect_b32 s20, s36, s60                                // 0000000078B4: 85143C24
	v_readlane_b32 s82, v3, 7                                  // 0000000078B8: D2890052 00010F03
	s_and_b32 s82, s82, 0xffffff                               // 0000000078C0: 8652FF52 00FFFFFF
	s_cmp_lt_u32 s82, s66                                      // 0000000078C8: BF0A4252
	s_cselect_b32 s21, s36, s60                                // 0000000078CC: 85153C24
	s_mov_b64 exec, s[20:21]                                   // 0000000078D0: BEFE0114
	global_atomic_add_f32 v6, v89, s[8:9]                      // 0000000078D4: DD348000 00085906
	global_atomic_add_f32 v6, v93, s[8:9] offset:256           // 0000000078DC: DD348100 00085D06
	s_mov_b64 exec, s[36:37]                                   // 0000000078E4: BEFE0124
	v_mov_b32_e32 v6, v64                                      // 0000000078E8: 7E0C0340
	s_mov_b64 s[60:61], 0                                      // 0000000078EC: BEBC0180
	v_readlane_b32 s82, v3, 8                                  // 0000000078F0: D2890052 00011103
	s_and_b32 s82, s82, 0xffffff                               // 0000000078F8: 8652FF52 00FFFFFF
	s_cmp_lt_u32 s82, s66                                      // 000000007900: BF0A4252
	s_cselect_b32 s20, s36, s60                                // 000000007904: 85143C24
	v_readlane_b32 s82, v3, 9                                  // 000000007908: D2890052 00011303
	s_and_b32 s82, s82, 0xffffff                               // 000000007910: 8652FF52 00FFFFFF
	s_cmp_lt_u32 s82, s66                                      // 000000007918: BF0A4252
	s_cselect_b32 s21, s36, s60                                // 00000000791C: 85153C24
	s_mov_b64 exec, s[20:21]                                   // 000000007920: BEFE0114
	global_atomic_add_f32 v6, v96, s[8:9]                      // 000000007924: DD348000 00086006
	global_atomic_add_f32 v6, v100, s[8:9] offset:256          // 00000000792C: DD348100 00086406
	s_mov_b64 exec, s[36:37]                                   // 000000007934: BEFE0124
	v_mov_b32_e32 v6, v65                                      // 000000007938: 7E0C0341
	s_mov_b64 s[60:61], 0                                      // 00000000793C: BEBC0180
	v_readlane_b32 s82, v3, 10                                 // 000000007940: D2890052 00011503
	s_and_b32 s82, s82, 0xffffff                               // 000000007948: 8652FF52 00FFFFFF
	s_cmp_lt_u32 s82, s66                                      // 000000007950: BF0A4252
	s_cselect_b32 s20, s36, s60                                // 000000007954: 85143C24
	v_readlane_b32 s82, v3, 11                                 // 000000007958: D2890052 00011703
	s_and_b32 s82, s82, 0xffffff                               // 000000007960: 8652FF52 00FFFFFF
	s_cmp_lt_u32 s82, s66                                      // 000000007968: BF0A4252
	s_cselect_b32 s21, s36, s60                                // 00000000796C: 85153C24
	s_mov_b64 exec, s[20:21]                                   // 000000007970: BEFE0114
	global_atomic_add_f32 v6, v97, s[8:9]                      // 000000007974: DD348000 00086106
	global_atomic_add_f32 v6, v101, s[8:9] offset:256          // 00000000797C: DD348100 00086506
	s_mov_b64 exec, s[36:37]                                   // 000000007984: BEFE0124
	v_mov_b32_e32 v6, v66                                      // 000000007988: 7E0C0342
	s_mov_b64 s[60:61], 0                                      // 00000000798C: BEBC0180
	v_readlane_b32 s82, v3, 12                                 // 000000007990: D2890052 00011903
	s_and_b32 s82, s82, 0xffffff                               // 000000007998: 8652FF52 00FFFFFF
	s_cmp_lt_u32 s82, s66                                      // 0000000079A0: BF0A4252
	s_cselect_b32 s20, s36, s60                                // 0000000079A4: 85143C24
	v_readlane_b32 s82, v3, 13                                 // 0000000079A8: D2890052 00011B03
	s_and_b32 s82, s82, 0xffffff                               // 0000000079B0: 8652FF52 00FFFFFF
	s_cmp_lt_u32 s82, s66                                      // 0000000079B8: BF0A4252
	s_cselect_b32 s21, s36, s60                                // 0000000079BC: 85153C24
	s_mov_b64 exec, s[20:21]                                   // 0000000079C0: BEFE0114
	global_atomic_add_f32 v6, v104, s[8:9]                     // 0000000079C4: DD348000 00086806
	global_atomic_add_f32 v6, v108, s[8:9] offset:256          // 0000000079CC: DD348100 00086C06
	s_mov_b64 exec, s[36:37]                                   // 0000000079D4: BEFE0124
	v_mov_b32_e32 v6, v67                                      // 0000000079D8: 7E0C0343
	s_mov_b64 s[60:61], 0                                      // 0000000079DC: BEBC0180
	v_readlane_b32 s82, v3, 14                                 // 0000000079E0: D2890052 00011D03
	s_and_b32 s82, s82, 0xffffff                               // 0000000079E8: 8652FF52 00FFFFFF
	s_cmp_lt_u32 s82, s66                                      // 0000000079F0: BF0A4252
	s_cselect_b32 s20, s36, s60                                // 0000000079F4: 85143C24
	v_readlane_b32 s82, v3, 15                                 // 0000000079F8: D2890052 00011F03
	s_and_b32 s82, s82, 0xffffff                               // 000000007A00: 8652FF52 00FFFFFF
	s_cmp_lt_u32 s82, s66                                      // 000000007A08: BF0A4252
	s_cselect_b32 s21, s36, s60                                // 000000007A0C: 85153C24
	s_mov_b64 exec, s[20:21]                                   // 000000007A10: BEFE0114
	global_atomic_add_f32 v6, v105, s[8:9]                     // 000000007A14: DD348000 00086906
	global_atomic_add_f32 v6, v109, s[8:9] offset:256          // 000000007A1C: DD348100 00086D06
	s_mov_b64 exec, s[36:37]                                   // 000000007A24: BEFE0124
	v_mov_b32_e32 v6, v68                                      // 000000007A28: 7E0C0344
	s_mov_b64 s[60:61], 0                                      // 000000007A2C: BEBC0180
	v_readlane_b32 s82, v3, 16                                 // 000000007A30: D2890052 00012103
	s_and_b32 s82, s82, 0xffffff                               // 000000007A38: 8652FF52 00FFFFFF
	s_cmp_lt_u32 s82, s66                                      // 000000007A40: BF0A4252
	s_cselect_b32 s20, s36, s60                                // 000000007A44: 85143C24
	v_readlane_b32 s82, v3, 17                                 // 000000007A48: D2890052 00012303
	s_and_b32 s82, s82, 0xffffff                               // 000000007A50: 8652FF52 00FFFFFF
	s_cmp_lt_u32 s82, s66                                      // 000000007A58: BF0A4252
	s_cselect_b32 s21, s36, s60                                // 000000007A5C: 85153C24
	s_mov_b64 exec, s[20:21]                                   // 000000007A60: BEFE0114
	global_atomic_add_f32 v6, v112, s[8:9]                     // 000000007A64: DD348000 00087006
	global_atomic_add_f32 v6, v116, s[8:9] offset:256          // 000000007A6C: DD348100 00087406
	s_mov_b64 exec, s[36:37]                                   // 000000007A74: BEFE0124
	v_mov_b32_e32 v6, v69                                      // 000000007A78: 7E0C0345
	s_mov_b64 s[60:61], 0                                      // 000000007A7C: BEBC0180
	v_readlane_b32 s82, v3, 18                                 // 000000007A80: D2890052 00012503
	s_and_b32 s82, s82, 0xffffff                               // 000000007A88: 8652FF52 00FFFFFF
	s_cmp_lt_u32 s82, s66                                      // 000000007A90: BF0A4252
	s_cselect_b32 s20, s36, s60                                // 000000007A94: 85143C24
	v_readlane_b32 s82, v3, 19                                 // 000000007A98: D2890052 00012703
	s_and_b32 s82, s82, 0xffffff                               // 000000007AA0: 8652FF52 00FFFFFF
	s_cmp_lt_u32 s82, s66                                      // 000000007AA8: BF0A4252
	s_cselect_b32 s21, s36, s60                                // 000000007AAC: 85153C24
	s_mov_b64 exec, s[20:21]                                   // 000000007AB0: BEFE0114
	global_atomic_add_f32 v6, v113, s[8:9]                     // 000000007AB4: DD348000 00087106
	global_atomic_add_f32 v6, v117, s[8:9] offset:256          // 000000007ABC: DD348100 00087506
	s_mov_b64 exec, s[36:37]                                   // 000000007AC4: BEFE0124
	v_mov_b32_e32 v6, v70                                      // 000000007AC8: 7E0C0346
	s_mov_b64 s[60:61], 0                                      // 000000007ACC: BEBC0180
	v_readlane_b32 s82, v3, 20                                 // 000000007AD0: D2890052 00012903
	s_and_b32 s82, s82, 0xffffff                               // 000000007AD8: 8652FF52 00FFFFFF
	s_cmp_lt_u32 s82, s66                                      // 000000007AE0: BF0A4252
	s_cselect_b32 s20, s36, s60                                // 000000007AE4: 85143C24
	v_readlane_b32 s82, v3, 21                                 // 000000007AE8: D2890052 00012B03
	s_and_b32 s82, s82, 0xffffff                               // 000000007AF0: 8652FF52 00FFFFFF
	s_cmp_lt_u32 s82, s66                                      // 000000007AF8: BF0A4252
	s_cselect_b32 s21, s36, s60                                // 000000007AFC: 85153C24
	s_mov_b64 exec, s[20:21]                                   // 000000007B00: BEFE0114
	global_atomic_add_f32 v6, v120, s[8:9]                     // 000000007B04: DD348000 00087806
	global_atomic_add_f32 v6, v124, s[8:9] offset:256          // 000000007B0C: DD348100 00087C06
	s_mov_b64 exec, s[36:37]                                   // 000000007B14: BEFE0124
	v_mov_b32_e32 v6, v71                                      // 000000007B18: 7E0C0347
	s_mov_b64 s[60:61], 0                                      // 000000007B1C: BEBC0180
	v_readlane_b32 s82, v3, 22                                 // 000000007B20: D2890052 00012D03
	s_and_b32 s82, s82, 0xffffff                               // 000000007B28: 8652FF52 00FFFFFF
	s_cmp_lt_u32 s82, s66                                      // 000000007B30: BF0A4252
	s_cselect_b32 s20, s36, s60                                // 000000007B34: 85143C24
	v_readlane_b32 s82, v3, 23                                 // 000000007B38: D2890052 00012F03
	s_and_b32 s82, s82, 0xffffff                               // 000000007B40: 8652FF52 00FFFFFF
	s_cmp_lt_u32 s82, s66                                      // 000000007B48: BF0A4252
	s_cselect_b32 s21, s36, s60                                // 000000007B4C: 85153C24
	s_mov_b64 exec, s[20:21]                                   // 000000007B50: BEFE0114
	global_atomic_add_f32 v6, v121, s[8:9]                     // 000000007B54: DD348000 00087906
	global_atomic_add_f32 v6, v125, s[8:9] offset:256          // 000000007B5C: DD348100 00087D06
	s_mov_b64 exec, s[36:37]                                   // 000000007B64: BEFE0124
	v_mov_b32_e32 v6, v72                                      // 000000007B68: 7E0C0348
	s_mov_b64 s[60:61], 0                                      // 000000007B6C: BEBC0180
	v_readlane_b32 s82, v3, 24                                 // 000000007B70: D2890052 00013103
	s_and_b32 s82, s82, 0xffffff                               // 000000007B78: 8652FF52 00FFFFFF
	s_cmp_lt_u32 s82, s66                                      // 000000007B80: BF0A4252
	s_cselect_b32 s20, s36, s60                                // 000000007B84: 85143C24
	v_readlane_b32 s82, v3, 25                                 // 000000007B88: D2890052 00013303
	s_and_b32 s82, s82, 0xffffff                               // 000000007B90: 8652FF52 00FFFFFF
	s_cmp_lt_u32 s82, s66                                      // 000000007B98: BF0A4252
	s_cselect_b32 s21, s36, s60                                // 000000007B9C: 85153C24
	s_mov_b64 exec, s[20:21]                                   // 000000007BA0: BEFE0114
	global_atomic_add_f32 v6, v128, s[8:9]                     // 000000007BA4: DD348000 00088006
	global_atomic_add_f32 v6, v132, s[8:9] offset:256          // 000000007BAC: DD348100 00088406
	s_mov_b64 exec, s[36:37]                                   // 000000007BB4: BEFE0124
	v_mov_b32_e32 v6, v73                                      // 000000007BB8: 7E0C0349
	s_mov_b64 s[60:61], 0                                      // 000000007BBC: BEBC0180
	v_readlane_b32 s82, v3, 26                                 // 000000007BC0: D2890052 00013503
	s_and_b32 s82, s82, 0xffffff                               // 000000007BC8: 8652FF52 00FFFFFF
	s_cmp_lt_u32 s82, s66                                      // 000000007BD0: BF0A4252
	s_cselect_b32 s20, s36, s60                                // 000000007BD4: 85143C24
	v_readlane_b32 s82, v3, 27                                 // 000000007BD8: D2890052 00013703
	s_and_b32 s82, s82, 0xffffff                               // 000000007BE0: 8652FF52 00FFFFFF
	s_cmp_lt_u32 s82, s66                                      // 000000007BE8: BF0A4252
	s_cselect_b32 s21, s36, s60                                // 000000007BEC: 85153C24
	s_mov_b64 exec, s[20:21]                                   // 000000007BF0: BEFE0114
	global_atomic_add_f32 v6, v129, s[8:9]                     // 000000007BF4: DD348000 00088106
	global_atomic_add_f32 v6, v133, s[8:9] offset:256          // 000000007BFC: DD348100 00088506
	s_mov_b64 exec, s[36:37]                                   // 000000007C04: BEFE0124
	v_mov_b32_e32 v6, v74                                      // 000000007C08: 7E0C034A
	s_mov_b64 s[60:61], 0                                      // 000000007C0C: BEBC0180
	v_readlane_b32 s82, v3, 28                                 // 000000007C10: D2890052 00013903
	s_and_b32 s82, s82, 0xffffff                               // 000000007C18: 8652FF52 00FFFFFF
	s_cmp_lt_u32 s82, s66                                      // 000000007C20: BF0A4252
	s_cselect_b32 s20, s36, s60                                // 000000007C24: 85143C24
	v_readlane_b32 s82, v3, 29                                 // 000000007C28: D2890052 00013B03
	s_and_b32 s82, s82, 0xffffff                               // 000000007C30: 8652FF52 00FFFFFF
	s_cmp_lt_u32 s82, s66                                      // 000000007C38: BF0A4252
	s_cselect_b32 s21, s36, s60                                // 000000007C3C: 85153C24
	s_mov_b64 exec, s[20:21]                                   // 000000007C40: BEFE0114
	global_atomic_add_f32 v6, v136, s[8:9]                     // 000000007C44: DD348000 00088806
	global_atomic_add_f32 v6, v140, s[8:9] offset:256          // 000000007C4C: DD348100 00088C06
	s_mov_b64 exec, s[36:37]                                   // 000000007C54: BEFE0124
	v_mov_b32_e32 v6, v75                                      // 000000007C58: 7E0C034B
	s_mov_b64 s[60:61], 0                                      // 000000007C5C: BEBC0180
	v_readlane_b32 s82, v3, 30                                 // 000000007C60: D2890052 00013D03
	s_and_b32 s82, s82, 0xffffff                               // 000000007C68: 8652FF52 00FFFFFF
	s_cmp_lt_u32 s82, s66                                      // 000000007C70: BF0A4252
	s_cselect_b32 s20, s36, s60                                // 000000007C74: 85143C24
	v_readlane_b32 s82, v3, 31                                 // 000000007C78: D2890052 00013F03
	s_and_b32 s82, s82, 0xffffff                               // 000000007C80: 8652FF52 00FFFFFF
	s_cmp_lt_u32 s82, s66                                      // 000000007C88: BF0A4252
	s_cselect_b32 s21, s36, s60                                // 000000007C8C: 85153C24
	s_mov_b64 exec, s[20:21]                                   // 000000007C90: BEFE0114
	global_atomic_add_f32 v6, v137, s[8:9]                     // 000000007C94: DD348000 00088906
	global_atomic_add_f32 v6, v141, s[8:9] offset:256          // 000000007C9C: DD348100 00088D06
	s_mov_b64 exec, s[36:37]                                   // 000000007CA4: BEFE0124
	ds_write_b64 v20, v[82:83]                                 // 000000007CA8: D89A0000 00005214
	ds_write_b64 v20, v[86:87] offset:4352                     // 000000007CB0: D89A1100 00005614
	ds_write_b64 v20, v[90:91] offset:8704                     // 000000007CB8: D89A2200 00005A14
	ds_write_b64 v20, v[94:95] offset:13056                    // 000000007CC0: D89A3300 00005E14
	ds_write_b64 v20, v[98:99] offset:17408                    // 000000007CC8: D89A4400 00006214
	ds_write_b64 v20, v[102:103] offset:21760                  // 000000007CD0: D89A5500 00006614
	ds_write_b64 v20, v[106:107] offset:26112                  // 000000007CD8: D89A6600 00006A14
	ds_write_b64 v20, v[110:111] offset:30464                  // 000000007CE0: D89A7700 00006E14
	ds_write_b64 v20, v[114:115] offset:2176                   // 000000007CE8: D89A0880 00007214
	ds_write_b64 v20, v[118:119] offset:6528                   // 000000007CF0: D89A1980 00007614
	ds_write_b64 v20, v[122:123] offset:10880                  // 000000007CF8: D89A2A80 00007A14
	ds_write_b64 v20, v[126:127] offset:15232                  // 000000007D00: D89A3B80 00007E14
	ds_write_b64 v20, v[130:131] offset:19584                  // 000000007D08: D89A4C80 00008214
	ds_write_b64 v20, v[134:135] offset:23936                  // 000000007D10: D89A5D80 00008614
	ds_write_b64 v20, v[138:139] offset:28288                  // 000000007D18: D89A6E80 00008A14
	ds_write_b64 v20, v[142:143] offset:32640                  // 000000007D20: D89A7F80 00008E14
	s_waitcnt lgkmcnt(0)                                       // 000000007D28: BF8CC07F
	s_barrier                                                  // 000000007D2C: BF8A0000
	ds_read_b32 v82, v21                                       // 000000007D30: D86C0000 52000015
	ds_read_b32 v83, v21 offset:64                             // 000000007D38: D86C0040 53000015
	ds_read_b32 v86, v21 offset:2176                           // 000000007D40: D86C0880 56000015
	ds_read_b32 v87, v21 offset:2240                           // 000000007D48: D86C08C0 57000015
	ds_read_b32 v90, v21 offset:4352                           // 000000007D50: D86C1100 5A000015
	ds_read_b32 v91, v21 offset:4416                           // 000000007D58: D86C1140 5B000015
	ds_read_b32 v94, v21 offset:6528                           // 000000007D60: D86C1980 5E000015
	ds_read_b32 v95, v21 offset:6592                           // 000000007D68: D86C19C0 5F000015
	ds_read_b32 v98, v21 offset:8704                           // 000000007D70: D86C2200 62000015
	ds_read_b32 v99, v21 offset:8768                           // 000000007D78: D86C2240 63000015
	ds_read_b32 v102, v21 offset:10880                         // 000000007D80: D86C2A80 66000015
	ds_read_b32 v103, v21 offset:10944                         // 000000007D88: D86C2AC0 67000015
	ds_read_b32 v106, v21 offset:13056                         // 000000007D90: D86C3300 6A000015
	ds_read_b32 v107, v21 offset:13120                         // 000000007D98: D86C3340 6B000015
	ds_read_b32 v110, v21 offset:15232                         // 000000007DA0: D86C3B80 6E000015
	ds_read_b32 v111, v21 offset:15296                         // 000000007DA8: D86C3BC0 6F000015
	ds_read_b32 v114, v21 offset:17408                         // 000000007DB0: D86C4400 72000015
	ds_read_b32 v115, v21 offset:17472                         // 000000007DB8: D86C4440 73000015
	ds_read_b32 v118, v21 offset:19584                         // 000000007DC0: D86C4C80 76000015
	ds_read_b32 v119, v21 offset:19648                         // 000000007DC8: D86C4CC0 77000015
	ds_read_b32 v122, v21 offset:21760                         // 000000007DD0: D86C5500 7A000015
	ds_read_b32 v123, v21 offset:21824                         // 000000007DD8: D86C5540 7B000015
	ds_read_b32 v126, v21 offset:23936                         // 000000007DE0: D86C5D80 7E000015
	ds_read_b32 v127, v21 offset:24000                         // 000000007DE8: D86C5DC0 7F000015
	ds_read_b32 v130, v21 offset:26112                         // 000000007DF0: D86C6600 82000015
	ds_read_b32 v131, v21 offset:26176                         // 000000007DF8: D86C6640 83000015
	ds_read_b32 v134, v21 offset:28288                         // 000000007E00: D86C6E80 86000015
	ds_read_b32 v135, v21 offset:28352                         // 000000007E08: D86C6EC0 87000015
	ds_read_b32 v138, v21 offset:30464                         // 000000007E10: D86C7700 8A000015
	ds_read_b32 v139, v21 offset:30528                         // 000000007E18: D86C7740 8B000015
	ds_read_b32 v142, v21 offset:32640                         // 000000007E20: D86C7F80 8E000015
	ds_read_b32 v143, v21 offset:32704                         // 000000007E28: D86C7FC0 8F000015
	s_waitcnt lgkmcnt(0)                                       // 000000007E30: BF8CC07F
	v_mov_b32_e32 v7, 0                                        // 000000007E34: 7E0E0280
	s_mov_b64 exec, s[36:37]                                   // 000000007E38: BEFE0124
	v_mov_b32_e32 v6, v60                                      // 000000007E3C: 7E0C033C
	s_mov_b64 s[60:61], 0                                      // 000000007E40: BEBC0180
	v_readlane_b32 s82, v3, 0                                  // 000000007E44: D2890052 00010103
	s_and_b32 s82, s82, 0xffffff                               // 000000007E4C: 8652FF52 00FFFFFF
	s_cmp_lt_u32 s82, s66                                      // 000000007E54: BF0A4252
	s_cselect_b32 s20, s36, s60                                // 000000007E58: 85143C24
	v_readlane_b32 s82, v3, 1                                  // 000000007E5C: D2890052 00010303
	s_and_b32 s82, s82, 0xffffff                               // 000000007E64: 8652FF52 00FFFFFF
	s_cmp_lt_u32 s82, s66                                      // 000000007E6C: BF0A4252
	s_cselect_b32 s21, s36, s60                                // 000000007E70: 85153C24
	s_mov_b64 exec, s[20:21]                                   // 000000007E74: BEFE0114
	global_atomic_add_f32 v6, v82, s[8:9] offset:8             // 000000007E78: DD348008 00085206
	global_atomic_add_f32 v6, v86, s[8:9] offset:264           // 000000007E80: DD348108 00085606
	s_mov_b64 exec, s[36:37]                                   // 000000007E88: BEFE0124
	v_mov_b32_e32 v6, v61                                      // 000000007E8C: 7E0C033D
	s_mov_b64 s[60:61], 0                                      // 000000007E90: BEBC0180
	v_readlane_b32 s82, v3, 2                                  // 000000007E94: D2890052 00010503
	s_and_b32 s82, s82, 0xffffff                               // 000000007E9C: 8652FF52 00FFFFFF
	s_cmp_lt_u32 s82, s66                                      // 000000007EA4: BF0A4252
	s_cselect_b32 s20, s36, s60                                // 000000007EA8: 85143C24
	v_readlane_b32 s82, v3, 3                                  // 000000007EAC: D2890052 00010703
	s_and_b32 s82, s82, 0xffffff                               // 000000007EB4: 8652FF52 00FFFFFF
	s_cmp_lt_u32 s82, s66                                      // 000000007EBC: BF0A4252
	s_cselect_b32 s21, s36, s60                                // 000000007EC0: 85153C24
	s_mov_b64 exec, s[20:21]                                   // 000000007EC4: BEFE0114
	global_atomic_add_f32 v6, v83, s[8:9] offset:8             // 000000007EC8: DD348008 00085306
	global_atomic_add_f32 v6, v87, s[8:9] offset:264           // 000000007ED0: DD348108 00085706
	s_mov_b64 exec, s[36:37]                                   // 000000007ED8: BEFE0124
	v_mov_b32_e32 v6, v62                                      // 000000007EDC: 7E0C033E
	s_mov_b64 s[60:61], 0                                      // 000000007EE0: BEBC0180
	v_readlane_b32 s82, v3, 4                                  // 000000007EE4: D2890052 00010903
	s_and_b32 s82, s82, 0xffffff                               // 000000007EEC: 8652FF52 00FFFFFF
	s_cmp_lt_u32 s82, s66                                      // 000000007EF4: BF0A4252
	s_cselect_b32 s20, s36, s60                                // 000000007EF8: 85143C24
	v_readlane_b32 s82, v3, 5                                  // 000000007EFC: D2890052 00010B03
	s_and_b32 s82, s82, 0xffffff                               // 000000007F04: 8652FF52 00FFFFFF
	s_cmp_lt_u32 s82, s66                                      // 000000007F0C: BF0A4252
	s_cselect_b32 s21, s36, s60                                // 000000007F10: 85153C24
	s_mov_b64 exec, s[20:21]                                   // 000000007F14: BEFE0114
	global_atomic_add_f32 v6, v90, s[8:9] offset:8             // 000000007F18: DD348008 00085A06
	global_atomic_add_f32 v6, v94, s[8:9] offset:264           // 000000007F20: DD348108 00085E06
	s_mov_b64 exec, s[36:37]                                   // 000000007F28: BEFE0124
	v_mov_b32_e32 v6, v63                                      // 000000007F2C: 7E0C033F
	s_mov_b64 s[60:61], 0                                      // 000000007F30: BEBC0180
	v_readlane_b32 s82, v3, 6                                  // 000000007F34: D2890052 00010D03
	s_and_b32 s82, s82, 0xffffff                               // 000000007F3C: 8652FF52 00FFFFFF
	s_cmp_lt_u32 s82, s66                                      // 000000007F44: BF0A4252
	s_cselect_b32 s20, s36, s60                                // 000000007F48: 85143C24
	v_readlane_b32 s82, v3, 7                                  // 000000007F4C: D2890052 00010F03
	s_and_b32 s82, s82, 0xffffff                               // 000000007F54: 8652FF52 00FFFFFF
	s_cmp_lt_u32 s82, s66                                      // 000000007F5C: BF0A4252
	s_cselect_b32 s21, s36, s60                                // 000000007F60: 85153C24
	s_mov_b64 exec, s[20:21]                                   // 000000007F64: BEFE0114
	global_atomic_add_f32 v6, v91, s[8:9] offset:8             // 000000007F68: DD348008 00085B06
	global_atomic_add_f32 v6, v95, s[8:9] offset:264           // 000000007F70: DD348108 00085F06
	s_mov_b64 exec, s[36:37]                                   // 000000007F78: BEFE0124
	v_mov_b32_e32 v6, v64                                      // 000000007F7C: 7E0C0340
	s_mov_b64 s[60:61], 0                                      // 000000007F80: BEBC0180
	v_readlane_b32 s82, v3, 8                                  // 000000007F84: D2890052 00011103
	s_and_b32 s82, s82, 0xffffff                               // 000000007F8C: 8652FF52 00FFFFFF
	s_cmp_lt_u32 s82, s66                                      // 000000007F94: BF0A4252
	s_cselect_b32 s20, s36, s60                                // 000000007F98: 85143C24
	v_readlane_b32 s82, v3, 9                                  // 000000007F9C: D2890052 00011303
	s_and_b32 s82, s82, 0xffffff                               // 000000007FA4: 8652FF52 00FFFFFF
	s_cmp_lt_u32 s82, s66                                      // 000000007FAC: BF0A4252
	s_cselect_b32 s21, s36, s60                                // 000000007FB0: 85153C24
	s_mov_b64 exec, s[20:21]                                   // 000000007FB4: BEFE0114
	global_atomic_add_f32 v6, v98, s[8:9] offset:8             // 000000007FB8: DD348008 00086206
	global_atomic_add_f32 v6, v102, s[8:9] offset:264          // 000000007FC0: DD348108 00086606
	s_mov_b64 exec, s[36:37]                                   // 000000007FC8: BEFE0124
	v_mov_b32_e32 v6, v65                                      // 000000007FCC: 7E0C0341
	s_mov_b64 s[60:61], 0                                      // 000000007FD0: BEBC0180
	v_readlane_b32 s82, v3, 10                                 // 000000007FD4: D2890052 00011503
	s_and_b32 s82, s82, 0xffffff                               // 000000007FDC: 8652FF52 00FFFFFF
	s_cmp_lt_u32 s82, s66                                      // 000000007FE4: BF0A4252
	s_cselect_b32 s20, s36, s60                                // 000000007FE8: 85143C24
	v_readlane_b32 s82, v3, 11                                 // 000000007FEC: D2890052 00011703
	s_and_b32 s82, s82, 0xffffff                               // 000000007FF4: 8652FF52 00FFFFFF
	s_cmp_lt_u32 s82, s66                                      // 000000007FFC: BF0A4252
	s_cselect_b32 s21, s36, s60                                // 000000008000: 85153C24
	s_mov_b64 exec, s[20:21]                                   // 000000008004: BEFE0114
	global_atomic_add_f32 v6, v99, s[8:9] offset:8             // 000000008008: DD348008 00086306
	global_atomic_add_f32 v6, v103, s[8:9] offset:264          // 000000008010: DD348108 00086706
	s_mov_b64 exec, s[36:37]                                   // 000000008018: BEFE0124
	v_mov_b32_e32 v6, v66                                      // 00000000801C: 7E0C0342
	s_mov_b64 s[60:61], 0                                      // 000000008020: BEBC0180
	v_readlane_b32 s82, v3, 12                                 // 000000008024: D2890052 00011903
	s_and_b32 s82, s82, 0xffffff                               // 00000000802C: 8652FF52 00FFFFFF
	s_cmp_lt_u32 s82, s66                                      // 000000008034: BF0A4252
	s_cselect_b32 s20, s36, s60                                // 000000008038: 85143C24
	v_readlane_b32 s82, v3, 13                                 // 00000000803C: D2890052 00011B03
	s_and_b32 s82, s82, 0xffffff                               // 000000008044: 8652FF52 00FFFFFF
	s_cmp_lt_u32 s82, s66                                      // 00000000804C: BF0A4252
	s_cselect_b32 s21, s36, s60                                // 000000008050: 85153C24
	s_mov_b64 exec, s[20:21]                                   // 000000008054: BEFE0114
	global_atomic_add_f32 v6, v106, s[8:9] offset:8            // 000000008058: DD348008 00086A06
	global_atomic_add_f32 v6, v110, s[8:9] offset:264          // 000000008060: DD348108 00086E06
	s_mov_b64 exec, s[36:37]                                   // 000000008068: BEFE0124
	v_mov_b32_e32 v6, v67                                      // 00000000806C: 7E0C0343
	s_mov_b64 s[60:61], 0                                      // 000000008070: BEBC0180
	v_readlane_b32 s82, v3, 14                                 // 000000008074: D2890052 00011D03
	s_and_b32 s82, s82, 0xffffff                               // 00000000807C: 8652FF52 00FFFFFF
	s_cmp_lt_u32 s82, s66                                      // 000000008084: BF0A4252
	s_cselect_b32 s20, s36, s60                                // 000000008088: 85143C24
	v_readlane_b32 s82, v3, 15                                 // 00000000808C: D2890052 00011F03
	s_and_b32 s82, s82, 0xffffff                               // 000000008094: 8652FF52 00FFFFFF
	s_cmp_lt_u32 s82, s66                                      // 00000000809C: BF0A4252
	s_cselect_b32 s21, s36, s60                                // 0000000080A0: 85153C24
	s_mov_b64 exec, s[20:21]                                   // 0000000080A4: BEFE0114
	global_atomic_add_f32 v6, v107, s[8:9] offset:8            // 0000000080A8: DD348008 00086B06
	global_atomic_add_f32 v6, v111, s[8:9] offset:264          // 0000000080B0: DD348108 00086F06
	s_mov_b64 exec, s[36:37]                                   // 0000000080B8: BEFE0124
	v_mov_b32_e32 v6, v68                                      // 0000000080BC: 7E0C0344
	s_mov_b64 s[60:61], 0                                      // 0000000080C0: BEBC0180
	v_readlane_b32 s82, v3, 16                                 // 0000000080C4: D2890052 00012103
	s_and_b32 s82, s82, 0xffffff                               // 0000000080CC: 8652FF52 00FFFFFF
	s_cmp_lt_u32 s82, s66                                      // 0000000080D4: BF0A4252
	s_cselect_b32 s20, s36, s60                                // 0000000080D8: 85143C24
	v_readlane_b32 s82, v3, 17                                 // 0000000080DC: D2890052 00012303
	s_and_b32 s82, s82, 0xffffff                               // 0000000080E4: 8652FF52 00FFFFFF
	s_cmp_lt_u32 s82, s66                                      // 0000000080EC: BF0A4252
	s_cselect_b32 s21, s36, s60                                // 0000000080F0: 85153C24
	s_mov_b64 exec, s[20:21]                                   // 0000000080F4: BEFE0114
	global_atomic_add_f32 v6, v114, s[8:9] offset:8            // 0000000080F8: DD348008 00087206
	global_atomic_add_f32 v6, v118, s[8:9] offset:264          // 000000008100: DD348108 00087606
	s_mov_b64 exec, s[36:37]                                   // 000000008108: BEFE0124
	v_mov_b32_e32 v6, v69                                      // 00000000810C: 7E0C0345
	s_mov_b64 s[60:61], 0                                      // 000000008110: BEBC0180
	v_readlane_b32 s82, v3, 18                                 // 000000008114: D2890052 00012503
	s_and_b32 s82, s82, 0xffffff                               // 00000000811C: 8652FF52 00FFFFFF
	s_cmp_lt_u32 s82, s66                                      // 000000008124: BF0A4252
	s_cselect_b32 s20, s36, s60                                // 000000008128: 85143C24
	v_readlane_b32 s82, v3, 19                                 // 00000000812C: D2890052 00012703
	s_and_b32 s82, s82, 0xffffff                               // 000000008134: 8652FF52 00FFFFFF
	s_cmp_lt_u32 s82, s66                                      // 00000000813C: BF0A4252
	s_cselect_b32 s21, s36, s60                                // 000000008140: 85153C24
	s_mov_b64 exec, s[20:21]                                   // 000000008144: BEFE0114
	global_atomic_add_f32 v6, v115, s[8:9] offset:8            // 000000008148: DD348008 00087306
	global_atomic_add_f32 v6, v119, s[8:9] offset:264          // 000000008150: DD348108 00087706
	s_mov_b64 exec, s[36:37]                                   // 000000008158: BEFE0124
	v_mov_b32_e32 v6, v70                                      // 00000000815C: 7E0C0346
	s_mov_b64 s[60:61], 0                                      // 000000008160: BEBC0180
	v_readlane_b32 s82, v3, 20                                 // 000000008164: D2890052 00012903
	s_and_b32 s82, s82, 0xffffff                               // 00000000816C: 8652FF52 00FFFFFF
	s_cmp_lt_u32 s82, s66                                      // 000000008174: BF0A4252
	s_cselect_b32 s20, s36, s60                                // 000000008178: 85143C24
	v_readlane_b32 s82, v3, 21                                 // 00000000817C: D2890052 00012B03
	s_and_b32 s82, s82, 0xffffff                               // 000000008184: 8652FF52 00FFFFFF
	s_cmp_lt_u32 s82, s66                                      // 00000000818C: BF0A4252
	s_cselect_b32 s21, s36, s60                                // 000000008190: 85153C24
	s_mov_b64 exec, s[20:21]                                   // 000000008194: BEFE0114
	global_atomic_add_f32 v6, v122, s[8:9] offset:8            // 000000008198: DD348008 00087A06
	global_atomic_add_f32 v6, v126, s[8:9] offset:264          // 0000000081A0: DD348108 00087E06
	s_mov_b64 exec, s[36:37]                                   // 0000000081A8: BEFE0124
	v_mov_b32_e32 v6, v71                                      // 0000000081AC: 7E0C0347
	s_mov_b64 s[60:61], 0                                      // 0000000081B0: BEBC0180
	v_readlane_b32 s82, v3, 22                                 // 0000000081B4: D2890052 00012D03
	s_and_b32 s82, s82, 0xffffff                               // 0000000081BC: 8652FF52 00FFFFFF
	s_cmp_lt_u32 s82, s66                                      // 0000000081C4: BF0A4252
	s_cselect_b32 s20, s36, s60                                // 0000000081C8: 85143C24
	v_readlane_b32 s82, v3, 23                                 // 0000000081CC: D2890052 00012F03
	s_and_b32 s82, s82, 0xffffff                               // 0000000081D4: 8652FF52 00FFFFFF
	s_cmp_lt_u32 s82, s66                                      // 0000000081DC: BF0A4252
	s_cselect_b32 s21, s36, s60                                // 0000000081E0: 85153C24
	s_mov_b64 exec, s[20:21]                                   // 0000000081E4: BEFE0114
	global_atomic_add_f32 v6, v123, s[8:9] offset:8            // 0000000081E8: DD348008 00087B06
	global_atomic_add_f32 v6, v127, s[8:9] offset:264          // 0000000081F0: DD348108 00087F06
	s_mov_b64 exec, s[36:37]                                   // 0000000081F8: BEFE0124
	v_mov_b32_e32 v6, v72                                      // 0000000081FC: 7E0C0348
	s_mov_b64 s[60:61], 0                                      // 000000008200: BEBC0180
	v_readlane_b32 s82, v3, 24                                 // 000000008204: D2890052 00013103
	s_and_b32 s82, s82, 0xffffff                               // 00000000820C: 8652FF52 00FFFFFF
	s_cmp_lt_u32 s82, s66                                      // 000000008214: BF0A4252
	s_cselect_b32 s20, s36, s60                                // 000000008218: 85143C24
	v_readlane_b32 s82, v3, 25                                 // 00000000821C: D2890052 00013303
	s_and_b32 s82, s82, 0xffffff                               // 000000008224: 8652FF52 00FFFFFF
	s_cmp_lt_u32 s82, s66                                      // 00000000822C: BF0A4252
	s_cselect_b32 s21, s36, s60                                // 000000008230: 85153C24
	s_mov_b64 exec, s[20:21]                                   // 000000008234: BEFE0114
	global_atomic_add_f32 v6, v130, s[8:9] offset:8            // 000000008238: DD348008 00088206
	global_atomic_add_f32 v6, v134, s[8:9] offset:264          // 000000008240: DD348108 00088606
	s_mov_b64 exec, s[36:37]                                   // 000000008248: BEFE0124
	v_mov_b32_e32 v6, v73                                      // 00000000824C: 7E0C0349
	s_mov_b64 s[60:61], 0                                      // 000000008250: BEBC0180
	v_readlane_b32 s82, v3, 26                                 // 000000008254: D2890052 00013503
	s_and_b32 s82, s82, 0xffffff                               // 00000000825C: 8652FF52 00FFFFFF
	s_cmp_lt_u32 s82, s66                                      // 000000008264: BF0A4252
	s_cselect_b32 s20, s36, s60                                // 000000008268: 85143C24
	v_readlane_b32 s82, v3, 27                                 // 00000000826C: D2890052 00013703
	s_and_b32 s82, s82, 0xffffff                               // 000000008274: 8652FF52 00FFFFFF
	s_cmp_lt_u32 s82, s66                                      // 00000000827C: BF0A4252
	s_cselect_b32 s21, s36, s60                                // 000000008280: 85153C24
	s_mov_b64 exec, s[20:21]                                   // 000000008284: BEFE0114
	global_atomic_add_f32 v6, v131, s[8:9] offset:8            // 000000008288: DD348008 00088306
	global_atomic_add_f32 v6, v135, s[8:9] offset:264          // 000000008290: DD348108 00088706
	s_mov_b64 exec, s[36:37]                                   // 000000008298: BEFE0124
	v_mov_b32_e32 v6, v74                                      // 00000000829C: 7E0C034A
	s_mov_b64 s[60:61], 0                                      // 0000000082A0: BEBC0180
	v_readlane_b32 s82, v3, 28                                 // 0000000082A4: D2890052 00013903
	s_and_b32 s82, s82, 0xffffff                               // 0000000082AC: 8652FF52 00FFFFFF
	s_cmp_lt_u32 s82, s66                                      // 0000000082B4: BF0A4252
	s_cselect_b32 s20, s36, s60                                // 0000000082B8: 85143C24
	v_readlane_b32 s82, v3, 29                                 // 0000000082BC: D2890052 00013B03
	s_and_b32 s82, s82, 0xffffff                               // 0000000082C4: 8652FF52 00FFFFFF
	s_cmp_lt_u32 s82, s66                                      // 0000000082CC: BF0A4252
	s_cselect_b32 s21, s36, s60                                // 0000000082D0: 85153C24
	s_mov_b64 exec, s[20:21]                                   // 0000000082D4: BEFE0114
	global_atomic_add_f32 v6, v138, s[8:9] offset:8            // 0000000082D8: DD348008 00088A06
	global_atomic_add_f32 v6, v142, s[8:9] offset:264          // 0000000082E0: DD348108 00088E06
	s_mov_b64 exec, s[36:37]                                   // 0000000082E8: BEFE0124
	v_mov_b32_e32 v6, v75                                      // 0000000082EC: 7E0C034B
	s_mov_b64 s[60:61], 0                                      // 0000000082F0: BEBC0180
	v_readlane_b32 s82, v3, 30                                 // 0000000082F4: D2890052 00013D03
	s_and_b32 s82, s82, 0xffffff                               // 0000000082FC: 8652FF52 00FFFFFF
	s_cmp_lt_u32 s82, s66                                      // 000000008304: BF0A4252
	s_cselect_b32 s20, s36, s60                                // 000000008308: 85143C24
	v_readlane_b32 s82, v3, 31                                 // 00000000830C: D2890052 00013F03
	s_and_b32 s82, s82, 0xffffff                               // 000000008314: 8652FF52 00FFFFFF
	s_cmp_lt_u32 s82, s66                                      // 00000000831C: BF0A4252
	s_cselect_b32 s21, s36, s60                                // 000000008320: 85153C24
	s_mov_b64 exec, s[20:21]                                   // 000000008324: BEFE0114
	global_atomic_add_f32 v6, v139, s[8:9] offset:8            // 000000008328: DD348008 00088B06
	global_atomic_add_f32 v6, v143, s[8:9] offset:264          // 000000008330: DD348108 00088F06
	s_mov_b64 exec, s[36:37]                                   // 000000008338: BEFE0124
	ds_write_b64 v20, v[144:145]                               // 00000000833C: D89A0000 00009014
	ds_write_b64 v20, v[148:149] offset:4352                   // 000000008344: D89A1100 00009414
	ds_write_b64 v20, v[152:153] offset:8704                   // 00000000834C: D89A2200 00009814
	ds_write_b64 v20, v[156:157] offset:13056                  // 000000008354: D89A3300 00009C14
	ds_write_b64 v20, v[160:161] offset:17408                  // 00000000835C: D89A4400 0000A014
	ds_write_b64 v20, v[164:165] offset:21760                  // 000000008364: D89A5500 0000A414
	ds_write_b64 v20, v[168:169] offset:26112                  // 00000000836C: D89A6600 0000A814
	ds_write_b64 v20, v[172:173] offset:30464                  // 000000008374: D89A7700 0000AC14
	ds_write_b64 v20, v[176:177] offset:2176                   // 00000000837C: D89A0880 0000B014
	ds_write_b64 v20, v[180:181] offset:6528                   // 000000008384: D89A1980 0000B414
	ds_write_b64 v20, v[184:185] offset:10880                  // 00000000838C: D89A2A80 0000B814
	ds_write_b64 v20, v[188:189] offset:15232                  // 000000008394: D89A3B80 0000BC14
	ds_write_b64 v20, v[192:193] offset:19584                  // 00000000839C: D89A4C80 0000C014
	ds_write_b64 v20, v[196:197] offset:23936                  // 0000000083A4: D89A5D80 0000C414
	ds_write_b64 v20, v[200:201] offset:28288                  // 0000000083AC: D89A6E80 0000C814
	ds_write_b64 v20, v[204:205] offset:32640                  // 0000000083B4: D89A7F80 0000CC14
	s_waitcnt lgkmcnt(0)                                       // 0000000083BC: BF8CC07F
	s_barrier                                                  // 0000000083C0: BF8A0000
	ds_read_b32 v144, v21                                      // 0000000083C4: D86C0000 90000015
	ds_read_b32 v145, v21 offset:64                            // 0000000083CC: D86C0040 91000015
	ds_read_b32 v148, v21 offset:2176                          // 0000000083D4: D86C0880 94000015
	ds_read_b32 v149, v21 offset:2240                          // 0000000083DC: D86C08C0 95000015
	ds_read_b32 v152, v21 offset:4352                          // 0000000083E4: D86C1100 98000015
	ds_read_b32 v153, v21 offset:4416                          // 0000000083EC: D86C1140 99000015
	ds_read_b32 v156, v21 offset:6528                          // 0000000083F4: D86C1980 9C000015
	ds_read_b32 v157, v21 offset:6592                          // 0000000083FC: D86C19C0 9D000015
	ds_read_b32 v160, v21 offset:8704                          // 000000008404: D86C2200 A0000015
	ds_read_b32 v161, v21 offset:8768                          // 00000000840C: D86C2240 A1000015
	ds_read_b32 v164, v21 offset:10880                         // 000000008414: D86C2A80 A4000015
	ds_read_b32 v165, v21 offset:10944                         // 00000000841C: D86C2AC0 A5000015
	ds_read_b32 v168, v21 offset:13056                         // 000000008424: D86C3300 A8000015
	ds_read_b32 v169, v21 offset:13120                         // 00000000842C: D86C3340 A9000015
	ds_read_b32 v172, v21 offset:15232                         // 000000008434: D86C3B80 AC000015
	ds_read_b32 v173, v21 offset:15296                         // 00000000843C: D86C3BC0 AD000015
	ds_read_b32 v176, v21 offset:17408                         // 000000008444: D86C4400 B0000015
	ds_read_b32 v177, v21 offset:17472                         // 00000000844C: D86C4440 B1000015
	ds_read_b32 v180, v21 offset:19584                         // 000000008454: D86C4C80 B4000015
	ds_read_b32 v181, v21 offset:19648                         // 00000000845C: D86C4CC0 B5000015
	ds_read_b32 v184, v21 offset:21760                         // 000000008464: D86C5500 B8000015
	ds_read_b32 v185, v21 offset:21824                         // 00000000846C: D86C5540 B9000015
	ds_read_b32 v188, v21 offset:23936                         // 000000008474: D86C5D80 BC000015
	ds_read_b32 v189, v21 offset:24000                         // 00000000847C: D86C5DC0 BD000015
	ds_read_b32 v192, v21 offset:26112                         // 000000008484: D86C6600 C0000015
	ds_read_b32 v193, v21 offset:26176                         // 00000000848C: D86C6640 C1000015
	ds_read_b32 v196, v21 offset:28288                         // 000000008494: D86C6E80 C4000015
	ds_read_b32 v197, v21 offset:28352                         // 00000000849C: D86C6EC0 C5000015
	ds_read_b32 v200, v21 offset:30464                         // 0000000084A4: D86C7700 C8000015
	ds_read_b32 v201, v21 offset:30528                         // 0000000084AC: D86C7740 C9000015
	ds_read_b32 v204, v21 offset:32640                         // 0000000084B4: D86C7F80 CC000015
	ds_read_b32 v205, v21 offset:32704                         // 0000000084BC: D86C7FC0 CD000015
	s_mul_i32 s60, s65, 4                                      // 0000000084C4: 923C8441
	s_add_u32 s8, s60, s8                                      // 0000000084C8: 8008083C
	s_addc_u32 s9, 0, s9                                       // 0000000084CC: 82090980
	s_waitcnt lgkmcnt(0)                                       // 0000000084D0: BF8CC07F
	v_mov_b32_e32 v7, 0                                        // 0000000084D4: 7E0E0280
	s_mov_b64 exec, s[36:37]                                   // 0000000084D8: BEFE0124
	v_mov_b32_e32 v6, v60                                      // 0000000084DC: 7E0C033C
	s_mov_b64 s[60:61], 0                                      // 0000000084E0: BEBC0180
	v_readlane_b32 s82, v3, 0                                  // 0000000084E4: D2890052 00010103
	s_and_b32 s82, s82, 0xffffff                               // 0000000084EC: 8652FF52 00FFFFFF
	s_cmp_lt_u32 s82, s66                                      // 0000000084F4: BF0A4252
	s_cselect_b32 s20, s36, s60                                // 0000000084F8: 85143C24
	v_readlane_b32 s82, v3, 1                                  // 0000000084FC: D2890052 00010303
	s_and_b32 s82, s82, 0xffffff                               // 000000008504: 8652FF52 00FFFFFF
	s_cmp_lt_u32 s82, s66                                      // 00000000850C: BF0A4252
	s_cselect_b32 s21, s36, s60                                // 000000008510: 85153C24
	s_mov_b64 exec, s[20:21]                                   // 000000008514: BEFE0114
	global_atomic_add_f32 v6, v144, s[8:9]                     // 000000008518: DD348000 00089006
	global_atomic_add_f32 v6, v148, s[8:9] offset:256          // 000000008520: DD348100 00089406
	s_mov_b64 exec, s[36:37]                                   // 000000008528: BEFE0124
	v_mov_b32_e32 v6, v61                                      // 00000000852C: 7E0C033D
	s_mov_b64 s[60:61], 0                                      // 000000008530: BEBC0180
	v_readlane_b32 s82, v3, 2                                  // 000000008534: D2890052 00010503
	s_and_b32 s82, s82, 0xffffff                               // 00000000853C: 8652FF52 00FFFFFF
	s_cmp_lt_u32 s82, s66                                      // 000000008544: BF0A4252
	s_cselect_b32 s20, s36, s60                                // 000000008548: 85143C24
	v_readlane_b32 s82, v3, 3                                  // 00000000854C: D2890052 00010703
	s_and_b32 s82, s82, 0xffffff                               // 000000008554: 8652FF52 00FFFFFF
	s_cmp_lt_u32 s82, s66                                      // 00000000855C: BF0A4252
	s_cselect_b32 s21, s36, s60                                // 000000008560: 85153C24
	s_mov_b64 exec, s[20:21]                                   // 000000008564: BEFE0114
	global_atomic_add_f32 v6, v145, s[8:9]                     // 000000008568: DD348000 00089106
	global_atomic_add_f32 v6, v149, s[8:9] offset:256          // 000000008570: DD348100 00089506
	s_mov_b64 exec, s[36:37]                                   // 000000008578: BEFE0124
	v_mov_b32_e32 v6, v62                                      // 00000000857C: 7E0C033E
	s_mov_b64 s[60:61], 0                                      // 000000008580: BEBC0180
	v_readlane_b32 s82, v3, 4                                  // 000000008584: D2890052 00010903
	s_and_b32 s82, s82, 0xffffff                               // 00000000858C: 8652FF52 00FFFFFF
	s_cmp_lt_u32 s82, s66                                      // 000000008594: BF0A4252
	s_cselect_b32 s20, s36, s60                                // 000000008598: 85143C24
	v_readlane_b32 s82, v3, 5                                  // 00000000859C: D2890052 00010B03
	s_and_b32 s82, s82, 0xffffff                               // 0000000085A4: 8652FF52 00FFFFFF
	s_cmp_lt_u32 s82, s66                                      // 0000000085AC: BF0A4252
	s_cselect_b32 s21, s36, s60                                // 0000000085B0: 85153C24
	s_mov_b64 exec, s[20:21]                                   // 0000000085B4: BEFE0114
	global_atomic_add_f32 v6, v152, s[8:9]                     // 0000000085B8: DD348000 00089806
	global_atomic_add_f32 v6, v156, s[8:9] offset:256          // 0000000085C0: DD348100 00089C06
	s_mov_b64 exec, s[36:37]                                   // 0000000085C8: BEFE0124
	v_mov_b32_e32 v6, v63                                      // 0000000085CC: 7E0C033F
	s_mov_b64 s[60:61], 0                                      // 0000000085D0: BEBC0180
	v_readlane_b32 s82, v3, 6                                  // 0000000085D4: D2890052 00010D03
	s_and_b32 s82, s82, 0xffffff                               // 0000000085DC: 8652FF52 00FFFFFF
	s_cmp_lt_u32 s82, s66                                      // 0000000085E4: BF0A4252
	s_cselect_b32 s20, s36, s60                                // 0000000085E8: 85143C24
	v_readlane_b32 s82, v3, 7                                  // 0000000085EC: D2890052 00010F03
	s_and_b32 s82, s82, 0xffffff                               // 0000000085F4: 8652FF52 00FFFFFF
	s_cmp_lt_u32 s82, s66                                      // 0000000085FC: BF0A4252
	s_cselect_b32 s21, s36, s60                                // 000000008600: 85153C24
	s_mov_b64 exec, s[20:21]                                   // 000000008604: BEFE0114
	global_atomic_add_f32 v6, v153, s[8:9]                     // 000000008608: DD348000 00089906
	global_atomic_add_f32 v6, v157, s[8:9] offset:256          // 000000008610: DD348100 00089D06
	s_mov_b64 exec, s[36:37]                                   // 000000008618: BEFE0124
	v_mov_b32_e32 v6, v64                                      // 00000000861C: 7E0C0340
	s_mov_b64 s[60:61], 0                                      // 000000008620: BEBC0180
	v_readlane_b32 s82, v3, 8                                  // 000000008624: D2890052 00011103
	s_and_b32 s82, s82, 0xffffff                               // 00000000862C: 8652FF52 00FFFFFF
	s_cmp_lt_u32 s82, s66                                      // 000000008634: BF0A4252
	s_cselect_b32 s20, s36, s60                                // 000000008638: 85143C24
	v_readlane_b32 s82, v3, 9                                  // 00000000863C: D2890052 00011303
	s_and_b32 s82, s82, 0xffffff                               // 000000008644: 8652FF52 00FFFFFF
	s_cmp_lt_u32 s82, s66                                      // 00000000864C: BF0A4252
	s_cselect_b32 s21, s36, s60                                // 000000008650: 85153C24
	s_mov_b64 exec, s[20:21]                                   // 000000008654: BEFE0114
	global_atomic_add_f32 v6, v160, s[8:9]                     // 000000008658: DD348000 0008A006
	global_atomic_add_f32 v6, v164, s[8:9] offset:256          // 000000008660: DD348100 0008A406
	s_mov_b64 exec, s[36:37]                                   // 000000008668: BEFE0124
	v_mov_b32_e32 v6, v65                                      // 00000000866C: 7E0C0341
	s_mov_b64 s[60:61], 0                                      // 000000008670: BEBC0180
	v_readlane_b32 s82, v3, 10                                 // 000000008674: D2890052 00011503
	s_and_b32 s82, s82, 0xffffff                               // 00000000867C: 8652FF52 00FFFFFF
	s_cmp_lt_u32 s82, s66                                      // 000000008684: BF0A4252
	s_cselect_b32 s20, s36, s60                                // 000000008688: 85143C24
	v_readlane_b32 s82, v3, 11                                 // 00000000868C: D2890052 00011703
	s_and_b32 s82, s82, 0xffffff                               // 000000008694: 8652FF52 00FFFFFF
	s_cmp_lt_u32 s82, s66                                      // 00000000869C: BF0A4252
	s_cselect_b32 s21, s36, s60                                // 0000000086A0: 85153C24
	s_mov_b64 exec, s[20:21]                                   // 0000000086A4: BEFE0114
	global_atomic_add_f32 v6, v161, s[8:9]                     // 0000000086A8: DD348000 0008A106
	global_atomic_add_f32 v6, v165, s[8:9] offset:256          // 0000000086B0: DD348100 0008A506
	s_mov_b64 exec, s[36:37]                                   // 0000000086B8: BEFE0124
	v_mov_b32_e32 v6, v66                                      // 0000000086BC: 7E0C0342
	s_mov_b64 s[60:61], 0                                      // 0000000086C0: BEBC0180
	v_readlane_b32 s82, v3, 12                                 // 0000000086C4: D2890052 00011903
	s_and_b32 s82, s82, 0xffffff                               // 0000000086CC: 8652FF52 00FFFFFF
	s_cmp_lt_u32 s82, s66                                      // 0000000086D4: BF0A4252
	s_cselect_b32 s20, s36, s60                                // 0000000086D8: 85143C24
	v_readlane_b32 s82, v3, 13                                 // 0000000086DC: D2890052 00011B03
	s_and_b32 s82, s82, 0xffffff                               // 0000000086E4: 8652FF52 00FFFFFF
	s_cmp_lt_u32 s82, s66                                      // 0000000086EC: BF0A4252
	s_cselect_b32 s21, s36, s60                                // 0000000086F0: 85153C24
	s_mov_b64 exec, s[20:21]                                   // 0000000086F4: BEFE0114
	global_atomic_add_f32 v6, v168, s[8:9]                     // 0000000086F8: DD348000 0008A806
	global_atomic_add_f32 v6, v172, s[8:9] offset:256          // 000000008700: DD348100 0008AC06
	s_mov_b64 exec, s[36:37]                                   // 000000008708: BEFE0124
	v_mov_b32_e32 v6, v67                                      // 00000000870C: 7E0C0343
	s_mov_b64 s[60:61], 0                                      // 000000008710: BEBC0180
	v_readlane_b32 s82, v3, 14                                 // 000000008714: D2890052 00011D03
	s_and_b32 s82, s82, 0xffffff                               // 00000000871C: 8652FF52 00FFFFFF
	s_cmp_lt_u32 s82, s66                                      // 000000008724: BF0A4252
	s_cselect_b32 s20, s36, s60                                // 000000008728: 85143C24
	v_readlane_b32 s82, v3, 15                                 // 00000000872C: D2890052 00011F03
	s_and_b32 s82, s82, 0xffffff                               // 000000008734: 8652FF52 00FFFFFF
	s_cmp_lt_u32 s82, s66                                      // 00000000873C: BF0A4252
	s_cselect_b32 s21, s36, s60                                // 000000008740: 85153C24
	s_mov_b64 exec, s[20:21]                                   // 000000008744: BEFE0114
	global_atomic_add_f32 v6, v169, s[8:9]                     // 000000008748: DD348000 0008A906
	global_atomic_add_f32 v6, v173, s[8:9] offset:256          // 000000008750: DD348100 0008AD06
	s_mov_b64 exec, s[36:37]                                   // 000000008758: BEFE0124
	v_mov_b32_e32 v6, v68                                      // 00000000875C: 7E0C0344
	s_mov_b64 s[60:61], 0                                      // 000000008760: BEBC0180
	v_readlane_b32 s82, v3, 16                                 // 000000008764: D2890052 00012103
	s_and_b32 s82, s82, 0xffffff                               // 00000000876C: 8652FF52 00FFFFFF
	s_cmp_lt_u32 s82, s66                                      // 000000008774: BF0A4252
	s_cselect_b32 s20, s36, s60                                // 000000008778: 85143C24
	v_readlane_b32 s82, v3, 17                                 // 00000000877C: D2890052 00012303
	s_and_b32 s82, s82, 0xffffff                               // 000000008784: 8652FF52 00FFFFFF
	s_cmp_lt_u32 s82, s66                                      // 00000000878C: BF0A4252
	s_cselect_b32 s21, s36, s60                                // 000000008790: 85153C24
	s_mov_b64 exec, s[20:21]                                   // 000000008794: BEFE0114
	global_atomic_add_f32 v6, v176, s[8:9]                     // 000000008798: DD348000 0008B006
	global_atomic_add_f32 v6, v180, s[8:9] offset:256          // 0000000087A0: DD348100 0008B406
	s_mov_b64 exec, s[36:37]                                   // 0000000087A8: BEFE0124
	v_mov_b32_e32 v6, v69                                      // 0000000087AC: 7E0C0345
	s_mov_b64 s[60:61], 0                                      // 0000000087B0: BEBC0180
	v_readlane_b32 s82, v3, 18                                 // 0000000087B4: D2890052 00012503
	s_and_b32 s82, s82, 0xffffff                               // 0000000087BC: 8652FF52 00FFFFFF
	s_cmp_lt_u32 s82, s66                                      // 0000000087C4: BF0A4252
	s_cselect_b32 s20, s36, s60                                // 0000000087C8: 85143C24
	v_readlane_b32 s82, v3, 19                                 // 0000000087CC: D2890052 00012703
	s_and_b32 s82, s82, 0xffffff                               // 0000000087D4: 8652FF52 00FFFFFF
	s_cmp_lt_u32 s82, s66                                      // 0000000087DC: BF0A4252
	s_cselect_b32 s21, s36, s60                                // 0000000087E0: 85153C24
	s_mov_b64 exec, s[20:21]                                   // 0000000087E4: BEFE0114
	global_atomic_add_f32 v6, v177, s[8:9]                     // 0000000087E8: DD348000 0008B106
	global_atomic_add_f32 v6, v181, s[8:9] offset:256          // 0000000087F0: DD348100 0008B506
	s_mov_b64 exec, s[36:37]                                   // 0000000087F8: BEFE0124
	v_mov_b32_e32 v6, v70                                      // 0000000087FC: 7E0C0346
	s_mov_b64 s[60:61], 0                                      // 000000008800: BEBC0180
	v_readlane_b32 s82, v3, 20                                 // 000000008804: D2890052 00012903
	s_and_b32 s82, s82, 0xffffff                               // 00000000880C: 8652FF52 00FFFFFF
	s_cmp_lt_u32 s82, s66                                      // 000000008814: BF0A4252
	s_cselect_b32 s20, s36, s60                                // 000000008818: 85143C24
	v_readlane_b32 s82, v3, 21                                 // 00000000881C: D2890052 00012B03
	s_and_b32 s82, s82, 0xffffff                               // 000000008824: 8652FF52 00FFFFFF
	s_cmp_lt_u32 s82, s66                                      // 00000000882C: BF0A4252
	s_cselect_b32 s21, s36, s60                                // 000000008830: 85153C24
	s_mov_b64 exec, s[20:21]                                   // 000000008834: BEFE0114
	global_atomic_add_f32 v6, v184, s[8:9]                     // 000000008838: DD348000 0008B806
	global_atomic_add_f32 v6, v188, s[8:9] offset:256          // 000000008840: DD348100 0008BC06
	s_mov_b64 exec, s[36:37]                                   // 000000008848: BEFE0124
	v_mov_b32_e32 v6, v71                                      // 00000000884C: 7E0C0347
	s_mov_b64 s[60:61], 0                                      // 000000008850: BEBC0180
	v_readlane_b32 s82, v3, 22                                 // 000000008854: D2890052 00012D03
	s_and_b32 s82, s82, 0xffffff                               // 00000000885C: 8652FF52 00FFFFFF
	s_cmp_lt_u32 s82, s66                                      // 000000008864: BF0A4252
	s_cselect_b32 s20, s36, s60                                // 000000008868: 85143C24
	v_readlane_b32 s82, v3, 23                                 // 00000000886C: D2890052 00012F03
	s_and_b32 s82, s82, 0xffffff                               // 000000008874: 8652FF52 00FFFFFF
	s_cmp_lt_u32 s82, s66                                      // 00000000887C: BF0A4252
	s_cselect_b32 s21, s36, s60                                // 000000008880: 85153C24
	s_mov_b64 exec, s[20:21]                                   // 000000008884: BEFE0114
	global_atomic_add_f32 v6, v185, s[8:9]                     // 000000008888: DD348000 0008B906
	global_atomic_add_f32 v6, v189, s[8:9] offset:256          // 000000008890: DD348100 0008BD06
	s_mov_b64 exec, s[36:37]                                   // 000000008898: BEFE0124
	v_mov_b32_e32 v6, v72                                      // 00000000889C: 7E0C0348
	s_mov_b64 s[60:61], 0                                      // 0000000088A0: BEBC0180
	v_readlane_b32 s82, v3, 24                                 // 0000000088A4: D2890052 00013103
	s_and_b32 s82, s82, 0xffffff                               // 0000000088AC: 8652FF52 00FFFFFF
	s_cmp_lt_u32 s82, s66                                      // 0000000088B4: BF0A4252
	s_cselect_b32 s20, s36, s60                                // 0000000088B8: 85143C24
	v_readlane_b32 s82, v3, 25                                 // 0000000088BC: D2890052 00013303
	s_and_b32 s82, s82, 0xffffff                               // 0000000088C4: 8652FF52 00FFFFFF
	s_cmp_lt_u32 s82, s66                                      // 0000000088CC: BF0A4252
	s_cselect_b32 s21, s36, s60                                // 0000000088D0: 85153C24
	s_mov_b64 exec, s[20:21]                                   // 0000000088D4: BEFE0114
	global_atomic_add_f32 v6, v192, s[8:9]                     // 0000000088D8: DD348000 0008C006
	global_atomic_add_f32 v6, v196, s[8:9] offset:256          // 0000000088E0: DD348100 0008C406
	s_mov_b64 exec, s[36:37]                                   // 0000000088E8: BEFE0124
	v_mov_b32_e32 v6, v73                                      // 0000000088EC: 7E0C0349
	s_mov_b64 s[60:61], 0                                      // 0000000088F0: BEBC0180
	v_readlane_b32 s82, v3, 26                                 // 0000000088F4: D2890052 00013503
	s_and_b32 s82, s82, 0xffffff                               // 0000000088FC: 8652FF52 00FFFFFF
	s_cmp_lt_u32 s82, s66                                      // 000000008904: BF0A4252
	s_cselect_b32 s20, s36, s60                                // 000000008908: 85143C24
	v_readlane_b32 s82, v3, 27                                 // 00000000890C: D2890052 00013703
	s_and_b32 s82, s82, 0xffffff                               // 000000008914: 8652FF52 00FFFFFF
	s_cmp_lt_u32 s82, s66                                      // 00000000891C: BF0A4252
	s_cselect_b32 s21, s36, s60                                // 000000008920: 85153C24
	s_mov_b64 exec, s[20:21]                                   // 000000008924: BEFE0114
	global_atomic_add_f32 v6, v193, s[8:9]                     // 000000008928: DD348000 0008C106
	global_atomic_add_f32 v6, v197, s[8:9] offset:256          // 000000008930: DD348100 0008C506
	s_mov_b64 exec, s[36:37]                                   // 000000008938: BEFE0124
	v_mov_b32_e32 v6, v74                                      // 00000000893C: 7E0C034A
	s_mov_b64 s[60:61], 0                                      // 000000008940: BEBC0180
	v_readlane_b32 s82, v3, 28                                 // 000000008944: D2890052 00013903
	s_and_b32 s82, s82, 0xffffff                               // 00000000894C: 8652FF52 00FFFFFF
	s_cmp_lt_u32 s82, s66                                      // 000000008954: BF0A4252
	s_cselect_b32 s20, s36, s60                                // 000000008958: 85143C24
	v_readlane_b32 s82, v3, 29                                 // 00000000895C: D2890052 00013B03
	s_and_b32 s82, s82, 0xffffff                               // 000000008964: 8652FF52 00FFFFFF
	s_cmp_lt_u32 s82, s66                                      // 00000000896C: BF0A4252
	s_cselect_b32 s21, s36, s60                                // 000000008970: 85153C24
	s_mov_b64 exec, s[20:21]                                   // 000000008974: BEFE0114
	global_atomic_add_f32 v6, v200, s[8:9]                     // 000000008978: DD348000 0008C806
	global_atomic_add_f32 v6, v204, s[8:9] offset:256          // 000000008980: DD348100 0008CC06
	s_mov_b64 exec, s[36:37]                                   // 000000008988: BEFE0124
	v_mov_b32_e32 v6, v75                                      // 00000000898C: 7E0C034B
	s_mov_b64 s[60:61], 0                                      // 000000008990: BEBC0180
	v_readlane_b32 s82, v3, 30                                 // 000000008994: D2890052 00013D03
	s_and_b32 s82, s82, 0xffffff                               // 00000000899C: 8652FF52 00FFFFFF
	s_cmp_lt_u32 s82, s66                                      // 0000000089A4: BF0A4252
	s_cselect_b32 s20, s36, s60                                // 0000000089A8: 85143C24
	v_readlane_b32 s82, v3, 31                                 // 0000000089AC: D2890052 00013F03
	s_and_b32 s82, s82, 0xffffff                               // 0000000089B4: 8652FF52 00FFFFFF
	s_cmp_lt_u32 s82, s66                                      // 0000000089BC: BF0A4252
	s_cselect_b32 s21, s36, s60                                // 0000000089C0: 85153C24
	s_mov_b64 exec, s[20:21]                                   // 0000000089C4: BEFE0114
	global_atomic_add_f32 v6, v201, s[8:9]                     // 0000000089C8: DD348000 0008C906
	global_atomic_add_f32 v6, v205, s[8:9] offset:256          // 0000000089D0: DD348100 0008CD06
	s_mov_b64 exec, s[36:37]                                   // 0000000089D8: BEFE0124
	ds_write_b64 v20, v[146:147]                               // 0000000089DC: D89A0000 00009214
	ds_write_b64 v20, v[150:151] offset:4352                   // 0000000089E4: D89A1100 00009614
	ds_write_b64 v20, v[154:155] offset:8704                   // 0000000089EC: D89A2200 00009A14
	ds_write_b64 v20, v[158:159] offset:13056                  // 0000000089F4: D89A3300 00009E14
	ds_write_b64 v20, v[162:163] offset:17408                  // 0000000089FC: D89A4400 0000A214
	ds_write_b64 v20, v[166:167] offset:21760                  // 000000008A04: D89A5500 0000A614
	ds_write_b64 v20, v[170:171] offset:26112                  // 000000008A0C: D89A6600 0000AA14
	ds_write_b64 v20, v[174:175] offset:30464                  // 000000008A14: D89A7700 0000AE14
	ds_write_b64 v20, v[178:179] offset:2176                   // 000000008A1C: D89A0880 0000B214
	ds_write_b64 v20, v[182:183] offset:6528                   // 000000008A24: D89A1980 0000B614
	ds_write_b64 v20, v[186:187] offset:10880                  // 000000008A2C: D89A2A80 0000BA14
	ds_write_b64 v20, v[190:191] offset:15232                  // 000000008A34: D89A3B80 0000BE14
	ds_write_b64 v20, v[194:195] offset:19584                  // 000000008A3C: D89A4C80 0000C214
	ds_write_b64 v20, v[198:199] offset:23936                  // 000000008A44: D89A5D80 0000C614
	ds_write_b64 v20, v[202:203] offset:28288                  // 000000008A4C: D89A6E80 0000CA14
	ds_write_b64 v20, v[206:207] offset:32640                  // 000000008A54: D89A7F80 0000CE14
	s_waitcnt lgkmcnt(0)                                       // 000000008A5C: BF8CC07F
	s_barrier                                                  // 000000008A60: BF8A0000
	ds_read_b32 v146, v21                                      // 000000008A64: D86C0000 92000015
	ds_read_b32 v147, v21 offset:64                            // 000000008A6C: D86C0040 93000015
	ds_read_b32 v150, v21 offset:2176                          // 000000008A74: D86C0880 96000015
	ds_read_b32 v151, v21 offset:2240                          // 000000008A7C: D86C08C0 97000015
	ds_read_b32 v154, v21 offset:4352                          // 000000008A84: D86C1100 9A000015
	ds_read_b32 v155, v21 offset:4416                          // 000000008A8C: D86C1140 9B000015
	ds_read_b32 v158, v21 offset:6528                          // 000000008A94: D86C1980 9E000015
	ds_read_b32 v159, v21 offset:6592                          // 000000008A9C: D86C19C0 9F000015
	ds_read_b32 v162, v21 offset:8704                          // 000000008AA4: D86C2200 A2000015
	ds_read_b32 v163, v21 offset:8768                          // 000000008AAC: D86C2240 A3000015
	ds_read_b32 v166, v21 offset:10880                         // 000000008AB4: D86C2A80 A6000015
	ds_read_b32 v167, v21 offset:10944                         // 000000008ABC: D86C2AC0 A7000015
	ds_read_b32 v170, v21 offset:13056                         // 000000008AC4: D86C3300 AA000015
	ds_read_b32 v171, v21 offset:13120                         // 000000008ACC: D86C3340 AB000015
	ds_read_b32 v174, v21 offset:15232                         // 000000008AD4: D86C3B80 AE000015
	ds_read_b32 v175, v21 offset:15296                         // 000000008ADC: D86C3BC0 AF000015
	ds_read_b32 v178, v21 offset:17408                         // 000000008AE4: D86C4400 B2000015
	ds_read_b32 v179, v21 offset:17472                         // 000000008AEC: D86C4440 B3000015
	ds_read_b32 v182, v21 offset:19584                         // 000000008AF4: D86C4C80 B6000015
	ds_read_b32 v183, v21 offset:19648                         // 000000008AFC: D86C4CC0 B7000015
	ds_read_b32 v186, v21 offset:21760                         // 000000008B04: D86C5500 BA000015
	ds_read_b32 v187, v21 offset:21824                         // 000000008B0C: D86C5540 BB000015
	ds_read_b32 v190, v21 offset:23936                         // 000000008B14: D86C5D80 BE000015
	ds_read_b32 v191, v21 offset:24000                         // 000000008B1C: D86C5DC0 BF000015
	ds_read_b32 v194, v21 offset:26112                         // 000000008B24: D86C6600 C2000015
	ds_read_b32 v195, v21 offset:26176                         // 000000008B2C: D86C6640 C3000015
	ds_read_b32 v198, v21 offset:28288                         // 000000008B34: D86C6E80 C6000015
	ds_read_b32 v199, v21 offset:28352                         // 000000008B3C: D86C6EC0 C7000015
	ds_read_b32 v202, v21 offset:30464                         // 000000008B44: D86C7700 CA000015
	ds_read_b32 v203, v21 offset:30528                         // 000000008B4C: D86C7740 CB000015
	ds_read_b32 v206, v21 offset:32640                         // 000000008B54: D86C7F80 CE000015
	ds_read_b32 v207, v21 offset:32704                         // 000000008B5C: D86C7FC0 CF000015
	s_waitcnt lgkmcnt(0)                                       // 000000008B64: BF8CC07F
	v_mov_b32_e32 v7, 0                                        // 000000008B68: 7E0E0280
	s_mov_b64 exec, s[36:37]                                   // 000000008B6C: BEFE0124
	v_mov_b32_e32 v6, v60                                      // 000000008B70: 7E0C033C
	s_mov_b64 s[60:61], 0                                      // 000000008B74: BEBC0180
	v_readlane_b32 s82, v3, 0                                  // 000000008B78: D2890052 00010103
	s_and_b32 s82, s82, 0xffffff                               // 000000008B80: 8652FF52 00FFFFFF
	s_cmp_lt_u32 s82, s66                                      // 000000008B88: BF0A4252
	s_cselect_b32 s20, s36, s60                                // 000000008B8C: 85143C24
	v_readlane_b32 s82, v3, 1                                  // 000000008B90: D2890052 00010303
	s_and_b32 s82, s82, 0xffffff                               // 000000008B98: 8652FF52 00FFFFFF
	s_cmp_lt_u32 s82, s66                                      // 000000008BA0: BF0A4252
	s_cselect_b32 s21, s36, s60                                // 000000008BA4: 85153C24
	s_mov_b64 exec, s[20:21]                                   // 000000008BA8: BEFE0114
	global_atomic_add_f32 v6, v146, s[8:9] offset:8            // 000000008BAC: DD348008 00089206
	global_atomic_add_f32 v6, v150, s[8:9] offset:264          // 000000008BB4: DD348108 00089606
	s_mov_b64 exec, s[36:37]                                   // 000000008BBC: BEFE0124
	v_mov_b32_e32 v6, v61                                      // 000000008BC0: 7E0C033D
	s_mov_b64 s[60:61], 0                                      // 000000008BC4: BEBC0180
	v_readlane_b32 s82, v3, 2                                  // 000000008BC8: D2890052 00010503
	s_and_b32 s82, s82, 0xffffff                               // 000000008BD0: 8652FF52 00FFFFFF
	s_cmp_lt_u32 s82, s66                                      // 000000008BD8: BF0A4252
	s_cselect_b32 s20, s36, s60                                // 000000008BDC: 85143C24
	v_readlane_b32 s82, v3, 3                                  // 000000008BE0: D2890052 00010703
	s_and_b32 s82, s82, 0xffffff                               // 000000008BE8: 8652FF52 00FFFFFF
	s_cmp_lt_u32 s82, s66                                      // 000000008BF0: BF0A4252
	s_cselect_b32 s21, s36, s60                                // 000000008BF4: 85153C24
	s_mov_b64 exec, s[20:21]                                   // 000000008BF8: BEFE0114
	global_atomic_add_f32 v6, v147, s[8:9] offset:8            // 000000008BFC: DD348008 00089306
	global_atomic_add_f32 v6, v151, s[8:9] offset:264          // 000000008C04: DD348108 00089706
	s_mov_b64 exec, s[36:37]                                   // 000000008C0C: BEFE0124
	v_mov_b32_e32 v6, v62                                      // 000000008C10: 7E0C033E
	s_mov_b64 s[60:61], 0                                      // 000000008C14: BEBC0180
	v_readlane_b32 s82, v3, 4                                  // 000000008C18: D2890052 00010903
	s_and_b32 s82, s82, 0xffffff                               // 000000008C20: 8652FF52 00FFFFFF
	s_cmp_lt_u32 s82, s66                                      // 000000008C28: BF0A4252
	s_cselect_b32 s20, s36, s60                                // 000000008C2C: 85143C24
	v_readlane_b32 s82, v3, 5                                  // 000000008C30: D2890052 00010B03
	s_and_b32 s82, s82, 0xffffff                               // 000000008C38: 8652FF52 00FFFFFF
	s_cmp_lt_u32 s82, s66                                      // 000000008C40: BF0A4252
	s_cselect_b32 s21, s36, s60                                // 000000008C44: 85153C24
	s_mov_b64 exec, s[20:21]                                   // 000000008C48: BEFE0114
	global_atomic_add_f32 v6, v154, s[8:9] offset:8            // 000000008C4C: DD348008 00089A06
	global_atomic_add_f32 v6, v158, s[8:9] offset:264          // 000000008C54: DD348108 00089E06
	s_mov_b64 exec, s[36:37]                                   // 000000008C5C: BEFE0124
	v_mov_b32_e32 v6, v63                                      // 000000008C60: 7E0C033F
	s_mov_b64 s[60:61], 0                                      // 000000008C64: BEBC0180
	v_readlane_b32 s82, v3, 6                                  // 000000008C68: D2890052 00010D03
	s_and_b32 s82, s82, 0xffffff                               // 000000008C70: 8652FF52 00FFFFFF
	s_cmp_lt_u32 s82, s66                                      // 000000008C78: BF0A4252
	s_cselect_b32 s20, s36, s60                                // 000000008C7C: 85143C24
	v_readlane_b32 s82, v3, 7                                  // 000000008C80: D2890052 00010F03
	s_and_b32 s82, s82, 0xffffff                               // 000000008C88: 8652FF52 00FFFFFF
	s_cmp_lt_u32 s82, s66                                      // 000000008C90: BF0A4252
	s_cselect_b32 s21, s36, s60                                // 000000008C94: 85153C24
	s_mov_b64 exec, s[20:21]                                   // 000000008C98: BEFE0114
	global_atomic_add_f32 v6, v155, s[8:9] offset:8            // 000000008C9C: DD348008 00089B06
	global_atomic_add_f32 v6, v159, s[8:9] offset:264          // 000000008CA4: DD348108 00089F06
	s_mov_b64 exec, s[36:37]                                   // 000000008CAC: BEFE0124
	v_mov_b32_e32 v6, v64                                      // 000000008CB0: 7E0C0340
	s_mov_b64 s[60:61], 0                                      // 000000008CB4: BEBC0180
	v_readlane_b32 s82, v3, 8                                  // 000000008CB8: D2890052 00011103
	s_and_b32 s82, s82, 0xffffff                               // 000000008CC0: 8652FF52 00FFFFFF
	s_cmp_lt_u32 s82, s66                                      // 000000008CC8: BF0A4252
	s_cselect_b32 s20, s36, s60                                // 000000008CCC: 85143C24
	v_readlane_b32 s82, v3, 9                                  // 000000008CD0: D2890052 00011303
	s_and_b32 s82, s82, 0xffffff                               // 000000008CD8: 8652FF52 00FFFFFF
	s_cmp_lt_u32 s82, s66                                      // 000000008CE0: BF0A4252
	s_cselect_b32 s21, s36, s60                                // 000000008CE4: 85153C24
	s_mov_b64 exec, s[20:21]                                   // 000000008CE8: BEFE0114
	global_atomic_add_f32 v6, v162, s[8:9] offset:8            // 000000008CEC: DD348008 0008A206
	global_atomic_add_f32 v6, v166, s[8:9] offset:264          // 000000008CF4: DD348108 0008A606
	s_mov_b64 exec, s[36:37]                                   // 000000008CFC: BEFE0124
	v_mov_b32_e32 v6, v65                                      // 000000008D00: 7E0C0341
	s_mov_b64 s[60:61], 0                                      // 000000008D04: BEBC0180
	v_readlane_b32 s82, v3, 10                                 // 000000008D08: D2890052 00011503
	s_and_b32 s82, s82, 0xffffff                               // 000000008D10: 8652FF52 00FFFFFF
	s_cmp_lt_u32 s82, s66                                      // 000000008D18: BF0A4252
	s_cselect_b32 s20, s36, s60                                // 000000008D1C: 85143C24
	v_readlane_b32 s82, v3, 11                                 // 000000008D20: D2890052 00011703
	s_and_b32 s82, s82, 0xffffff                               // 000000008D28: 8652FF52 00FFFFFF
	s_cmp_lt_u32 s82, s66                                      // 000000008D30: BF0A4252
	s_cselect_b32 s21, s36, s60                                // 000000008D34: 85153C24
	s_mov_b64 exec, s[20:21]                                   // 000000008D38: BEFE0114
	global_atomic_add_f32 v6, v163, s[8:9] offset:8            // 000000008D3C: DD348008 0008A306
	global_atomic_add_f32 v6, v167, s[8:9] offset:264          // 000000008D44: DD348108 0008A706
	s_mov_b64 exec, s[36:37]                                   // 000000008D4C: BEFE0124
	v_mov_b32_e32 v6, v66                                      // 000000008D50: 7E0C0342
	s_mov_b64 s[60:61], 0                                      // 000000008D54: BEBC0180
	v_readlane_b32 s82, v3, 12                                 // 000000008D58: D2890052 00011903
	s_and_b32 s82, s82, 0xffffff                               // 000000008D60: 8652FF52 00FFFFFF
	s_cmp_lt_u32 s82, s66                                      // 000000008D68: BF0A4252
	s_cselect_b32 s20, s36, s60                                // 000000008D6C: 85143C24
	v_readlane_b32 s82, v3, 13                                 // 000000008D70: D2890052 00011B03
	s_and_b32 s82, s82, 0xffffff                               // 000000008D78: 8652FF52 00FFFFFF
	s_cmp_lt_u32 s82, s66                                      // 000000008D80: BF0A4252
	s_cselect_b32 s21, s36, s60                                // 000000008D84: 85153C24
	s_mov_b64 exec, s[20:21]                                   // 000000008D88: BEFE0114
	global_atomic_add_f32 v6, v170, s[8:9] offset:8            // 000000008D8C: DD348008 0008AA06
	global_atomic_add_f32 v6, v174, s[8:9] offset:264          // 000000008D94: DD348108 0008AE06
	s_mov_b64 exec, s[36:37]                                   // 000000008D9C: BEFE0124
	v_mov_b32_e32 v6, v67                                      // 000000008DA0: 7E0C0343
	s_mov_b64 s[60:61], 0                                      // 000000008DA4: BEBC0180
	v_readlane_b32 s82, v3, 14                                 // 000000008DA8: D2890052 00011D03
	s_and_b32 s82, s82, 0xffffff                               // 000000008DB0: 8652FF52 00FFFFFF
	s_cmp_lt_u32 s82, s66                                      // 000000008DB8: BF0A4252
	s_cselect_b32 s20, s36, s60                                // 000000008DBC: 85143C24
	v_readlane_b32 s82, v3, 15                                 // 000000008DC0: D2890052 00011F03
	s_and_b32 s82, s82, 0xffffff                               // 000000008DC8: 8652FF52 00FFFFFF
	s_cmp_lt_u32 s82, s66                                      // 000000008DD0: BF0A4252
	s_cselect_b32 s21, s36, s60                                // 000000008DD4: 85153C24
	s_mov_b64 exec, s[20:21]                                   // 000000008DD8: BEFE0114
	global_atomic_add_f32 v6, v171, s[8:9] offset:8            // 000000008DDC: DD348008 0008AB06
	global_atomic_add_f32 v6, v175, s[8:9] offset:264          // 000000008DE4: DD348108 0008AF06
	s_mov_b64 exec, s[36:37]                                   // 000000008DEC: BEFE0124
	v_mov_b32_e32 v6, v68                                      // 000000008DF0: 7E0C0344
	s_mov_b64 s[60:61], 0                                      // 000000008DF4: BEBC0180
	v_readlane_b32 s82, v3, 16                                 // 000000008DF8: D2890052 00012103
	s_and_b32 s82, s82, 0xffffff                               // 000000008E00: 8652FF52 00FFFFFF
	s_cmp_lt_u32 s82, s66                                      // 000000008E08: BF0A4252
	s_cselect_b32 s20, s36, s60                                // 000000008E0C: 85143C24
	v_readlane_b32 s82, v3, 17                                 // 000000008E10: D2890052 00012303
	s_and_b32 s82, s82, 0xffffff                               // 000000008E18: 8652FF52 00FFFFFF
	s_cmp_lt_u32 s82, s66                                      // 000000008E20: BF0A4252
	s_cselect_b32 s21, s36, s60                                // 000000008E24: 85153C24
	s_mov_b64 exec, s[20:21]                                   // 000000008E28: BEFE0114
	global_atomic_add_f32 v6, v178, s[8:9] offset:8            // 000000008E2C: DD348008 0008B206
	global_atomic_add_f32 v6, v182, s[8:9] offset:264          // 000000008E34: DD348108 0008B606
	s_mov_b64 exec, s[36:37]                                   // 000000008E3C: BEFE0124
	v_mov_b32_e32 v6, v69                                      // 000000008E40: 7E0C0345
	s_mov_b64 s[60:61], 0                                      // 000000008E44: BEBC0180
	v_readlane_b32 s82, v3, 18                                 // 000000008E48: D2890052 00012503
	s_and_b32 s82, s82, 0xffffff                               // 000000008E50: 8652FF52 00FFFFFF
	s_cmp_lt_u32 s82, s66                                      // 000000008E58: BF0A4252
	s_cselect_b32 s20, s36, s60                                // 000000008E5C: 85143C24
	v_readlane_b32 s82, v3, 19                                 // 000000008E60: D2890052 00012703
	s_and_b32 s82, s82, 0xffffff                               // 000000008E68: 8652FF52 00FFFFFF
	s_cmp_lt_u32 s82, s66                                      // 000000008E70: BF0A4252
	s_cselect_b32 s21, s36, s60                                // 000000008E74: 85153C24
	s_mov_b64 exec, s[20:21]                                   // 000000008E78: BEFE0114
	global_atomic_add_f32 v6, v179, s[8:9] offset:8            // 000000008E7C: DD348008 0008B306
	global_atomic_add_f32 v6, v183, s[8:9] offset:264          // 000000008E84: DD348108 0008B706
	s_mov_b64 exec, s[36:37]                                   // 000000008E8C: BEFE0124
	v_mov_b32_e32 v6, v70                                      // 000000008E90: 7E0C0346
	s_mov_b64 s[60:61], 0                                      // 000000008E94: BEBC0180
	v_readlane_b32 s82, v3, 20                                 // 000000008E98: D2890052 00012903
	s_and_b32 s82, s82, 0xffffff                               // 000000008EA0: 8652FF52 00FFFFFF
	s_cmp_lt_u32 s82, s66                                      // 000000008EA8: BF0A4252
	s_cselect_b32 s20, s36, s60                                // 000000008EAC: 85143C24
	v_readlane_b32 s82, v3, 21                                 // 000000008EB0: D2890052 00012B03
	s_and_b32 s82, s82, 0xffffff                               // 000000008EB8: 8652FF52 00FFFFFF
	s_cmp_lt_u32 s82, s66                                      // 000000008EC0: BF0A4252
	s_cselect_b32 s21, s36, s60                                // 000000008EC4: 85153C24
	s_mov_b64 exec, s[20:21]                                   // 000000008EC8: BEFE0114
	global_atomic_add_f32 v6, v186, s[8:9] offset:8            // 000000008ECC: DD348008 0008BA06
	global_atomic_add_f32 v6, v190, s[8:9] offset:264          // 000000008ED4: DD348108 0008BE06
	s_mov_b64 exec, s[36:37]                                   // 000000008EDC: BEFE0124
	v_mov_b32_e32 v6, v71                                      // 000000008EE0: 7E0C0347
	s_mov_b64 s[60:61], 0                                      // 000000008EE4: BEBC0180
	v_readlane_b32 s82, v3, 22                                 // 000000008EE8: D2890052 00012D03
	s_and_b32 s82, s82, 0xffffff                               // 000000008EF0: 8652FF52 00FFFFFF
	s_cmp_lt_u32 s82, s66                                      // 000000008EF8: BF0A4252
	s_cselect_b32 s20, s36, s60                                // 000000008EFC: 85143C24
	v_readlane_b32 s82, v3, 23                                 // 000000008F00: D2890052 00012F03
	s_and_b32 s82, s82, 0xffffff                               // 000000008F08: 8652FF52 00FFFFFF
	s_cmp_lt_u32 s82, s66                                      // 000000008F10: BF0A4252
	s_cselect_b32 s21, s36, s60                                // 000000008F14: 85153C24
	s_mov_b64 exec, s[20:21]                                   // 000000008F18: BEFE0114
	global_atomic_add_f32 v6, v187, s[8:9] offset:8            // 000000008F1C: DD348008 0008BB06
	global_atomic_add_f32 v6, v191, s[8:9] offset:264          // 000000008F24: DD348108 0008BF06
	s_mov_b64 exec, s[36:37]                                   // 000000008F2C: BEFE0124
	v_mov_b32_e32 v6, v72                                      // 000000008F30: 7E0C0348
	s_mov_b64 s[60:61], 0                                      // 000000008F34: BEBC0180
	v_readlane_b32 s82, v3, 24                                 // 000000008F38: D2890052 00013103
	s_and_b32 s82, s82, 0xffffff                               // 000000008F40: 8652FF52 00FFFFFF
	s_cmp_lt_u32 s82, s66                                      // 000000008F48: BF0A4252
	s_cselect_b32 s20, s36, s60                                // 000000008F4C: 85143C24
	v_readlane_b32 s82, v3, 25                                 // 000000008F50: D2890052 00013303
	s_and_b32 s82, s82, 0xffffff                               // 000000008F58: 8652FF52 00FFFFFF
	s_cmp_lt_u32 s82, s66                                      // 000000008F60: BF0A4252
	s_cselect_b32 s21, s36, s60                                // 000000008F64: 85153C24
	s_mov_b64 exec, s[20:21]                                   // 000000008F68: BEFE0114
	global_atomic_add_f32 v6, v194, s[8:9] offset:8            // 000000008F6C: DD348008 0008C206
	global_atomic_add_f32 v6, v198, s[8:9] offset:264          // 000000008F74: DD348108 0008C606
	s_mov_b64 exec, s[36:37]                                   // 000000008F7C: BEFE0124
	v_mov_b32_e32 v6, v73                                      // 000000008F80: 7E0C0349
	s_mov_b64 s[60:61], 0                                      // 000000008F84: BEBC0180
	v_readlane_b32 s82, v3, 26                                 // 000000008F88: D2890052 00013503
	s_and_b32 s82, s82, 0xffffff                               // 000000008F90: 8652FF52 00FFFFFF
	s_cmp_lt_u32 s82, s66                                      // 000000008F98: BF0A4252
	s_cselect_b32 s20, s36, s60                                // 000000008F9C: 85143C24
	v_readlane_b32 s82, v3, 27                                 // 000000008FA0: D2890052 00013703
	s_and_b32 s82, s82, 0xffffff                               // 000000008FA8: 8652FF52 00FFFFFF
	s_cmp_lt_u32 s82, s66                                      // 000000008FB0: BF0A4252
	s_cselect_b32 s21, s36, s60                                // 000000008FB4: 85153C24
	s_mov_b64 exec, s[20:21]                                   // 000000008FB8: BEFE0114
	global_atomic_add_f32 v6, v195, s[8:9] offset:8            // 000000008FBC: DD348008 0008C306
	global_atomic_add_f32 v6, v199, s[8:9] offset:264          // 000000008FC4: DD348108 0008C706
	s_mov_b64 exec, s[36:37]                                   // 000000008FCC: BEFE0124
	v_mov_b32_e32 v6, v74                                      // 000000008FD0: 7E0C034A
	s_mov_b64 s[60:61], 0                                      // 000000008FD4: BEBC0180
	v_readlane_b32 s82, v3, 28                                 // 000000008FD8: D2890052 00013903
	s_and_b32 s82, s82, 0xffffff                               // 000000008FE0: 8652FF52 00FFFFFF
	s_cmp_lt_u32 s82, s66                                      // 000000008FE8: BF0A4252
	s_cselect_b32 s20, s36, s60                                // 000000008FEC: 85143C24
	v_readlane_b32 s82, v3, 29                                 // 000000008FF0: D2890052 00013B03
	s_and_b32 s82, s82, 0xffffff                               // 000000008FF8: 8652FF52 00FFFFFF
	s_cmp_lt_u32 s82, s66                                      // 000000009000: BF0A4252
	s_cselect_b32 s21, s36, s60                                // 000000009004: 85153C24
	s_mov_b64 exec, s[20:21]                                   // 000000009008: BEFE0114
	global_atomic_add_f32 v6, v202, s[8:9] offset:8            // 00000000900C: DD348008 0008CA06
	global_atomic_add_f32 v6, v206, s[8:9] offset:264          // 000000009014: DD348108 0008CE06
	s_mov_b64 exec, s[36:37]                                   // 00000000901C: BEFE0124
	v_mov_b32_e32 v6, v75                                      // 000000009020: 7E0C034B
	s_mov_b64 s[60:61], 0                                      // 000000009024: BEBC0180
	v_readlane_b32 s82, v3, 30                                 // 000000009028: D2890052 00013D03
	s_and_b32 s82, s82, 0xffffff                               // 000000009030: 8652FF52 00FFFFFF
	s_cmp_lt_u32 s82, s66                                      // 000000009038: BF0A4252
	s_cselect_b32 s20, s36, s60                                // 00000000903C: 85143C24
	v_readlane_b32 s82, v3, 31                                 // 000000009040: D2890052 00013F03
	s_and_b32 s82, s82, 0xffffff                               // 000000009048: 8652FF52 00FFFFFF
	s_cmp_lt_u32 s82, s66                                      // 000000009050: BF0A4252
	s_cselect_b32 s21, s36, s60                                // 000000009054: 85153C24
	s_mov_b64 exec, s[20:21]                                   // 000000009058: BEFE0114
	global_atomic_add_f32 v6, v203, s[8:9] offset:8            // 00000000905C: DD348008 0008CB06
	global_atomic_add_f32 v6, v207, s[8:9] offset:264          // 000000009064: DD348108 0008CF06
	s_mov_b64 exec, s[36:37]                                   // 00000000906C: BEFE0124
	s_branch label_2FAE                                        // 000000009070: BF82160E

0000000000009074 <label_19A0>:
	s_waitcnt vmcnt(2) lgkmcnt(0)                              // 000000009074: BF8C0072
	s_barrier                                                  // 000000009078: BF8A0000
	v_mfma_f32_16x16x32_fp8_fp8 v[80:83], a[128:129], a[0:1], v[80:83]// 00000000907C: D3F30050 1D420180
	buffer_load_dwordx4 a[144:147], v76, s[84:87], 0 offen     // 000000009084: E05C1000 8095904C
	v_mfma_f32_16x16x32_fp8_fp8 v[80:83], a[130:131], a[2:3], v[80:83]// 00000000908C: D3F30050 1D420582
	v_mfma_f32_16x16x32_fp8_fp8 v[80:83], a[132:133], a[4:5], v[80:83]// 000000009094: D3F30050 1D420984
	v_mfma_f32_16x16x32_fp8_fp8 v[80:83], a[134:135], a[6:7], v[80:83]// 00000000909C: D3F30050 1D420D86
	v_mfma_f32_16x16x32_fp8_fp8 v[84:87], a[128:129], a[8:9], v[84:87]// 0000000090A4: D3F30054 1D521180
	buffer_load_dwordx4 a[148:151], v76, s[84:87], 0 offen offset:1024// 0000000090AC: E05C1400 8095944C
	v_mfma_f32_16x16x32_fp8_fp8 v[84:87], a[130:131], a[10:11], v[84:87]// 0000000090B4: D3F30054 1D521582
	v_mfma_f32_16x16x32_fp8_fp8 v[84:87], a[132:133], a[12:13], v[84:87]// 0000000090BC: D3F30054 1D521984
	v_mfma_f32_16x16x32_fp8_fp8 v[84:87], a[134:135], a[14:15], v[84:87]// 0000000090C4: D3F30054 1D521D86
	v_mfma_f32_16x16x32_fp8_fp8 v[88:91], a[128:129], a[16:17], v[88:91]// 0000000090CC: D3F30058 1D622180
	buffer_load_dwordx4 a[152:155], v77, s[84:87], 0 offen     // 0000000090D4: E05C1000 8095984D
	v_mfma_f32_16x16x32_fp8_fp8 v[88:91], a[130:131], a[18:19], v[88:91]// 0000000090DC: D3F30058 1D622582
	v_mfma_f32_16x16x32_fp8_fp8 v[88:91], a[132:133], a[20:21], v[88:91]// 0000000090E4: D3F30058 1D622984
	v_mfma_f32_16x16x32_fp8_fp8 v[88:91], a[134:135], a[22:23], v[88:91]// 0000000090EC: D3F30058 1D622D86
	v_mfma_f32_16x16x32_fp8_fp8 v[92:95], a[128:129], a[24:25], v[92:95]// 0000000090F4: D3F3005C 1D723180
	buffer_load_dwordx4 a[156:159], v77, s[84:87], 0 offen offset:1024// 0000000090FC: E05C1400 80959C4D
	buffer_load_dword v60, s[20:23], 0 offen lds               // 000000009104: E0511000 8005003C
	s_add_u32 m0, 0x100, s48                                   // 00000000910C: 807C30FF 00000100
	v_mfma_f32_16x16x32_fp8_fp8 v[92:95], a[130:131], a[26:27], v[92:95]// 000000009114: D3F3005C 1D723582
	v_mfma_f32_16x16x32_fp8_fp8 v[92:95], a[132:133], a[28:29], v[92:95]// 00000000911C: D3F3005C 1D723984
	buffer_load_dword v61, s[20:23], 0 offen lds               // 000000009124: E0511000 8005003D
	s_add_u32 m0, 0x200, s48                                   // 00000000912C: 807C30FF 00000200
	v_mfma_f32_16x16x32_fp8_fp8 v[92:95], a[134:135], a[30:31], v[92:95]// 000000009134: D3F3005C 1D723D86
	v_mfma_f32_16x16x32_fp8_fp8 v[96:99], a[128:129], a[32:33], v[96:99]// 00000000913C: D3F30060 1D824180
	v_mfma_f32_16x16x32_fp8_fp8 v[96:99], a[130:131], a[34:35], v[96:99]// 000000009144: D3F30060 1D824582
	v_mfma_f32_16x16x32_fp8_fp8 v[96:99], a[132:133], a[36:37], v[96:99]// 00000000914C: D3F30060 1D824984
	v_mfma_f32_16x16x32_fp8_fp8 v[96:99], a[134:135], a[38:39], v[96:99]// 000000009154: D3F30060 1D824D86
	v_mfma_f32_16x16x32_fp8_fp8 v[100:103], a[128:129], a[40:41], v[100:103]// 00000000915C: D3F30064 1D925180
	buffer_load_dword v62, s[20:23], 0 offen lds               // 000000009164: E0511000 8005003E
	s_add_u32 m0, 0x300, s48                                   // 00000000916C: 807C30FF 00000300
	v_mfma_f32_16x16x32_fp8_fp8 v[100:103], a[130:131], a[42:43], v[100:103]// 000000009174: D3F30064 1D925582
	v_mfma_f32_16x16x32_fp8_fp8 v[100:103], a[132:133], a[44:45], v[100:103]// 00000000917C: D3F30064 1D925984
	buffer_load_dword v63, s[20:23], 0 offen lds               // 000000009184: E0511000 8005003F
	s_add_u32 m0, 0x400, s48                                   // 00000000918C: 807C30FF 00000400
	v_mfma_f32_16x16x32_fp8_fp8 v[100:103], a[134:135], a[46:47], v[100:103]// 000000009194: D3F30064 1D925D86
	v_mfma_f32_16x16x32_fp8_fp8 v[104:107], a[128:129], a[48:49], v[104:107]// 00000000919C: D3F30068 1DA26180
	v_mfma_f32_16x16x32_fp8_fp8 v[104:107], a[130:131], a[50:51], v[104:107]// 0000000091A4: D3F30068 1DA26582
	v_mfma_f32_16x16x32_fp8_fp8 v[104:107], a[132:133], a[52:53], v[104:107]// 0000000091AC: D3F30068 1DA26984
	v_mfma_f32_16x16x32_fp8_fp8 v[104:107], a[134:135], a[54:55], v[104:107]// 0000000091B4: D3F30068 1DA26D86
	v_mfma_f32_16x16x32_fp8_fp8 v[108:111], a[128:129], a[56:57], v[108:111]// 0000000091BC: D3F3006C 1DB27180
	buffer_load_dword v64, s[20:23], 0 offen lds               // 0000000091C4: E0511000 80050040
	s_add_u32 m0, 0x500, s48                                   // 0000000091CC: 807C30FF 00000500
	v_mfma_f32_16x16x32_fp8_fp8 v[108:111], a[130:131], a[58:59], v[108:111]// 0000000091D4: D3F3006C 1DB27582
	v_mfma_f32_16x16x32_fp8_fp8 v[108:111], a[132:133], a[60:61], v[108:111]// 0000000091DC: D3F3006C 1DB27984
	buffer_load_dword v65, s[20:23], 0 offen lds               // 0000000091E4: E0511000 80050041
	s_add_u32 m0, 0x600, s48                                   // 0000000091EC: 807C30FF 00000600
	v_mfma_f32_16x16x32_fp8_fp8 v[108:111], a[134:135], a[62:63], v[108:111]// 0000000091F4: D3F3006C 1DB27D86
	s_waitcnt vmcnt(10)                                        // 0000000091FC: BF8C0F7A
	v_mfma_f32_16x16x32_fp8_fp8 v[112:115], a[136:137], a[0:1], v[112:115]// 000000009200: D3F30070 1DC20188
	buffer_load_dword v66, s[20:23], 0 offen lds               // 000000009208: E0511000 80050042
	s_add_u32 m0, 0x700, s48                                   // 000000009210: 807C30FF 00000700
	v_mfma_f32_16x16x32_fp8_fp8 v[112:115], a[138:139], a[2:3], v[112:115]// 000000009218: D3F30070 1DC2058A
	v_mfma_f32_16x16x32_fp8_fp8 v[112:115], a[140:141], a[4:5], v[112:115]// 000000009220: D3F30070 1DC2098C
	buffer_load_dword v67, s[20:23], 0 offen lds               // 000000009228: E0511000 80050043
	s_add_u32 m0, 0x800, s48                                   // 000000009230: 807C30FF 00000800
	v_mfma_f32_16x16x32_fp8_fp8 v[112:115], a[142:143], a[6:7], v[112:115]// 000000009238: D3F30070 1DC20D8E
	v_mfma_f32_16x16x32_fp8_fp8 v[116:119], a[136:137], a[8:9], v[116:119]// 000000009240: D3F30074 1DD21188
	buffer_load_dword v68, s[20:23], 0 offen lds               // 000000009248: E0511000 80050044
	s_add_u32 m0, 0x900, s48                                   // 000000009250: 807C30FF 00000900
	v_mfma_f32_16x16x32_fp8_fp8 v[116:119], a[138:139], a[10:11], v[116:119]// 000000009258: D3F30074 1DD2158A
	v_mfma_f32_16x16x32_fp8_fp8 v[116:119], a[140:141], a[12:13], v[116:119]// 000000009260: D3F30074 1DD2198C
	buffer_load_dword v69, s[20:23], 0 offen lds               // 000000009268: E0511000 80050045
	s_add_u32 m0, 0xa00, s48                                   // 000000009270: 807C30FF 00000A00
	v_mfma_f32_16x16x32_fp8_fp8 v[116:119], a[142:143], a[14:15], v[116:119]// 000000009278: D3F30074 1DD21D8E
	v_mfma_f32_16x16x32_fp8_fp8 v[120:123], a[136:137], a[16:17], v[120:123]// 000000009280: D3F30078 1DE22188
	buffer_load_dword v70, s[20:23], 0 offen lds               // 000000009288: E0511000 80050046
	s_add_u32 m0, 0xb00, s48                                   // 000000009290: 807C30FF 00000B00
	v_mfma_f32_16x16x32_fp8_fp8 v[120:123], a[138:139], a[18:19], v[120:123]// 000000009298: D3F30078 1DE2258A
	v_mfma_f32_16x16x32_fp8_fp8 v[120:123], a[140:141], a[20:21], v[120:123]// 0000000092A0: D3F30078 1DE2298C
	buffer_load_dword v71, s[20:23], 0 offen lds               // 0000000092A8: E0511000 80050047
	s_add_u32 m0, 0xc00, s48                                   // 0000000092B0: 807C30FF 00000C00
	v_mfma_f32_16x16x32_fp8_fp8 v[120:123], a[142:143], a[22:23], v[120:123]// 0000000092B8: D3F30078 1DE22D8E
	v_mfma_f32_16x16x32_fp8_fp8 v[124:127], a[136:137], a[24:25], v[124:127]// 0000000092C0: D3F3007C 1DF23188
	buffer_load_dword v72, s[20:23], 0 offen lds               // 0000000092C8: E0511000 80050048
	s_add_u32 m0, 0xd00, s48                                   // 0000000092D0: 807C30FF 00000D00
	v_mfma_f32_16x16x32_fp8_fp8 v[124:127], a[138:139], a[26:27], v[124:127]// 0000000092D8: D3F3007C 1DF2358A
	v_mfma_f32_16x16x32_fp8_fp8 v[124:127], a[140:141], a[28:29], v[124:127]// 0000000092E0: D3F3007C 1DF2398C
	buffer_load_dword v73, s[20:23], 0 offen lds               // 0000000092E8: E0511000 80050049
	s_add_u32 m0, 0xe00, s48                                   // 0000000092F0: 807C30FF 00000E00
	v_mfma_f32_16x16x32_fp8_fp8 v[124:127], a[142:143], a[30:31], v[124:127]// 0000000092F8: D3F3007C 1DF23D8E
	v_mfma_f32_16x16x32_fp8_fp8 v[128:131], a[136:137], a[32:33], v[128:131]// 000000009300: D3F30080 1E024188
	v_mfma_f32_16x16x32_fp8_fp8 v[128:131], a[138:139], a[34:35], v[128:131]// 000000009308: D3F30080 1E02458A
	v_mfma_f32_16x16x32_fp8_fp8 v[128:131], a[140:141], a[36:37], v[128:131]// 000000009310: D3F30080 1E02498C
	v_mfma_f32_16x16x32_fp8_fp8 v[128:131], a[142:143], a[38:39], v[128:131]// 000000009318: D3F30080 1E024D8E
	v_mfma_f32_16x16x32_fp8_fp8 v[132:135], a[136:137], a[40:41], v[132:135]// 000000009320: D3F30084 1E125188
	buffer_load_dword v74, s[20:23], 0 offen lds               // 000000009328: E0511000 8005004A
	s_add_u32 m0, 0xf00, s48                                   // 000000009330: 807C30FF 00000F00
	v_mfma_f32_16x16x32_fp8_fp8 v[132:135], a[138:139], a[42:43], v[132:135]// 000000009338: D3F30084 1E12558A
	v_mfma_f32_16x16x32_fp8_fp8 v[132:135], a[140:141], a[44:45], v[132:135]// 000000009340: D3F30084 1E12598C
	buffer_load_dword v75, s[20:23], 0 offen lds               // 000000009348: E0511000 8005004B
	s_add_u32 m0, 0, s49                                       // 000000009350: 807C3180
	v_mfma_f32_16x16x32_fp8_fp8 v[132:135], a[142:143], a[46:47], v[132:135]// 000000009354: D3F30084 1E125D8E
	v_mfma_f32_16x16x32_fp8_fp8 v[136:139], a[136:137], a[48:49], v[136:139]// 00000000935C: D3F30088 1E226188
	v_mfma_f32_16x16x32_fp8_fp8 v[136:139], a[138:139], a[50:51], v[136:139]// 000000009364: D3F30088 1E22658A
	v_mfma_f32_16x16x32_fp8_fp8 v[136:139], a[140:141], a[52:53], v[136:139]// 00000000936C: D3F30088 1E22698C
	v_mfma_f32_16x16x32_fp8_fp8 v[136:139], a[142:143], a[54:55], v[136:139]// 000000009374: D3F30088 1E226D8E
	v_mfma_f32_16x16x32_fp8_fp8 v[140:143], a[136:137], a[56:57], v[140:143]// 00000000937C: D3F3008C 1E327188
	v_mfma_f32_16x16x32_fp8_fp8 v[140:143], a[138:139], a[58:59], v[140:143]// 000000009384: D3F3008C 1E32758A
	s_add_u32 s60, 0x80, s80                                   // 00000000938C: 803C50FF 00000080
	s_cmp_lt_u32 s60, s81                                      // 000000009394: BF0A513C
	s_cselect_b32 s83, s83, 0                                  // 000000009398: 85538053
	v_mfma_f32_16x16x32_fp8_fp8 v[140:143], a[140:141], a[60:61], v[140:143]// 00000000939C: D3F3008C 1E32798C
	v_mfma_f32_16x16x32_fp8_fp8 v[140:143], a[142:143], a[62:63], v[140:143]// 0000000093A4: D3F3008C 1E327D8E
	s_waitcnt vmcnt(16)                                        // 0000000093AC: BF8C4F70
	v_mfma_f32_16x16x32_fp8_fp8 v[144:147], a[144:145], a[0:1], v[144:147]// 0000000093B0: D3F30090 1E420190
	buffer_load_dwordx4 a[128:131], v76, s[24:27], 0 offen     // 0000000093B8: E05C1000 8086804C
	v_mfma_f32_16x16x32_fp8_fp8 v[144:147], a[146:147], a[2:3], v[144:147]// 0000000093C0: D3F30090 1E420592
	v_mfma_f32_16x16x32_fp8_fp8 v[144:147], a[148:149], a[4:5], v[144:147]// 0000000093C8: D3F30090 1E420994
	ds_read_b128 a[64:67], v2 offset:16512                     // 0000000093D0: DBFE4080 40000002
	ds_read_b128 a[68:71], v2 offset:16576                     // 0000000093D8: DBFE40C0 44000002
	v_mfma_f32_16x16x32_fp8_fp8 v[144:147], a[150:151], a[6:7], v[144:147]// 0000000093E0: D3F30090 1E420D96
	v_mfma_f32_16x16x32_fp8_fp8 v[176:179], a[152:153], a[0:1], v[176:179]// 0000000093E8: D3F300B0 1EC20198
	buffer_load_dwordx4 a[132:135], v76, s[24:27], 0 offen offset:1024// 0000000093F0: E05C1400 8086844C
	v_mfma_f32_16x16x32_fp8_fp8 v[176:179], a[154:155], a[2:3], v[176:179]// 0000000093F8: D3F300B0 1EC2059A
	v_mfma_f32_16x16x32_fp8_fp8 v[176:179], a[156:157], a[4:5], v[176:179]// 000000009400: D3F300B0 1EC2099C
	ds_read_b128 a[72:75], v2 offset:17024                     // 000000009408: DBFE4280 48000002
	ds_read_b128 a[76:79], v2 offset:17088                     // 000000009410: DBFE42C0 4C000002
	v_mfma_f32_16x16x32_fp8_fp8 v[176:179], a[158:159], a[6:7], v[176:179]// 000000009418: D3F300B0 1EC20D9E
	v_mfma_f32_16x16x32_fp8_fp8 v[148:151], a[144:145], a[8:9], v[148:151]// 000000009420: D3F30094 1E521190
	buffer_load_dwordx4 a[136:139], v77, s[24:27], 0 offen     // 000000009428: E05C1000 8086884D
	v_mfma_f32_16x16x32_fp8_fp8 v[148:151], a[146:147], a[10:11], v[148:151]// 000000009430: D3F30094 1E521592
	v_mfma_f32_16x16x32_fp8_fp8 v[148:151], a[148:149], a[12:13], v[148:151]// 000000009438: D3F30094 1E521994
	ds_read_b128 a[80:83], v2 offset:17536                     // 000000009440: DBFE4480 50000002
	ds_read_b128 a[84:87], v2 offset:17600                     // 000000009448: DBFE44C0 54000002
	v_mfma_f32_16x16x32_fp8_fp8 v[148:151], a[150:151], a[14:15], v[148:151]// 000000009450: D3F30094 1E521D96
	v_mfma_f32_16x16x32_fp8_fp8 v[180:183], a[152:153], a[8:9], v[180:183]// 000000009458: D3F300B4 1ED21198
	buffer_load_dwordx4 a[140:143], v77, s[24:27], 0 offen offset:1024// 000000009460: E05C1400 80868C4D
	v_mfma_f32_16x16x32_fp8_fp8 v[180:183], a[154:155], a[10:11], v[180:183]// 000000009468: D3F300B4 1ED2159A
	v_mfma_f32_16x16x32_fp8_fp8 v[180:183], a[156:157], a[12:13], v[180:183]// 000000009470: D3F300B4 1ED2199C
	ds_read_b128 a[88:91], v2 offset:18048                     // 000000009478: DBFE4680 58000002
	ds_read_b128 a[92:95], v2 offset:18112                     // 000000009480: DBFE46C0 5C000002
	v_mfma_f32_16x16x32_fp8_fp8 v[180:183], a[158:159], a[14:15], v[180:183]// 000000009488: D3F300B4 1ED21D9E
	v_mfma_f32_16x16x32_fp8_fp8 v[152:155], a[144:145], a[16:17], v[152:155]// 000000009490: D3F30098 1E622190
	v_mfma_f32_16x16x32_fp8_fp8 v[152:155], a[146:147], a[18:19], v[152:155]// 000000009498: D3F30098 1E622592
	v_mfma_f32_16x16x32_fp8_fp8 v[152:155], a[148:149], a[20:21], v[152:155]// 0000000094A0: D3F30098 1E622994
	ds_read_b128 a[96:99], v2 offset:18560                     // 0000000094A8: DBFE4880 60000002
	ds_read_b128 a[100:103], v2 offset:18624                   // 0000000094B0: DBFE48C0 64000002
	v_mfma_f32_16x16x32_fp8_fp8 v[152:155], a[150:151], a[22:23], v[152:155]// 0000000094B8: D3F30098 1E622D96
	v_mfma_f32_16x16x32_fp8_fp8 v[184:187], a[152:153], a[16:17], v[184:187]// 0000000094C0: D3F300B8 1EE22198
	v_mfma_f32_16x16x32_fp8_fp8 v[184:187], a[154:155], a[18:19], v[184:187]// 0000000094C8: D3F300B8 1EE2259A
	v_mfma_f32_16x16x32_fp8_fp8 v[184:187], a[156:157], a[20:21], v[184:187]// 0000000094D0: D3F300B8 1EE2299C
	ds_read_b128 a[104:107], v2 offset:19072                   // 0000000094D8: DBFE4A80 68000002
	ds_read_b128 a[108:111], v2 offset:19136                   // 0000000094E0: DBFE4AC0 6C000002
	v_mfma_f32_16x16x32_fp8_fp8 v[184:187], a[158:159], a[22:23], v[184:187]// 0000000094E8: D3F300B8 1EE22D9E
	v_mfma_f32_16x16x32_fp8_fp8 v[156:159], a[144:145], a[24:25], v[156:159]// 0000000094F0: D3F3009C 1E723190
	v_mfma_f32_16x16x32_fp8_fp8 v[156:159], a[146:147], a[26:27], v[156:159]// 0000000094F8: D3F3009C 1E723592
	v_mfma_f32_16x16x32_fp8_fp8 v[156:159], a[148:149], a[28:29], v[156:159]// 000000009500: D3F3009C 1E723994
	ds_read_b128 a[112:115], v2 offset:19584                   // 000000009508: DBFE4C80 70000002
	ds_read_b128 a[116:119], v2 offset:19648                   // 000000009510: DBFE4CC0 74000002
	v_mfma_f32_16x16x32_fp8_fp8 v[156:159], a[150:151], a[30:31], v[156:159]// 000000009518: D3F3009C 1E723D96
	v_mfma_f32_16x16x32_fp8_fp8 v[188:191], a[152:153], a[24:25], v[188:191]// 000000009520: D3F300BC 1EF23198
	v_mfma_f32_16x16x32_fp8_fp8 v[188:191], a[154:155], a[26:27], v[188:191]// 000000009528: D3F300BC 1EF2359A
	v_mfma_f32_16x16x32_fp8_fp8 v[188:191], a[156:157], a[28:29], v[188:191]// 000000009530: D3F300BC 1EF2399C
	ds_read_b128 a[120:123], v2 offset:20096                   // 000000009538: DBFE4E80 78000002
	ds_read_b128 a[124:127], v2 offset:20160                   // 000000009540: DBFE4EC0 7C000002
	v_mfma_f32_16x16x32_fp8_fp8 v[188:191], a[158:159], a[30:31], v[188:191]// 000000009548: D3F300BC 1EF23D9E
	v_mfma_f32_16x16x32_fp8_fp8 v[160:163], a[144:145], a[32:33], v[160:163]// 000000009550: D3F300A0 1E824190
	v_mfma_f32_16x16x32_fp8_fp8 v[160:163], a[146:147], a[34:35], v[160:163]// 000000009558: D3F300A0 1E824592
	v_mfma_f32_16x16x32_fp8_fp8 v[160:163], a[148:149], a[36:37], v[160:163]// 000000009560: D3F300A0 1E824994
	v_mfma_f32_16x16x32_fp8_fp8 v[160:163], a[150:151], a[38:39], v[160:163]// 000000009568: D3F300A0 1E824D96
	v_mfma_f32_16x16x32_fp8_fp8 v[192:195], a[152:153], a[32:33], v[192:195]// 000000009570: D3F300C0 1F024198
	v_mfma_f32_16x16x32_fp8_fp8 v[192:195], a[154:155], a[34:35], v[192:195]// 000000009578: D3F300C0 1F02459A
	v_mfma_f32_16x16x32_fp8_fp8 v[192:195], a[156:157], a[36:37], v[192:195]// 000000009580: D3F300C0 1F02499C
	v_mfma_f32_16x16x32_fp8_fp8 v[192:195], a[158:159], a[38:39], v[192:195]// 000000009588: D3F300C0 1F024D9E
	v_mfma_f32_16x16x32_fp8_fp8 v[164:167], a[144:145], a[40:41], v[164:167]// 000000009590: D3F300A4 1E925190
	v_mfma_f32_16x16x32_fp8_fp8 v[164:167], a[146:147], a[42:43], v[164:167]// 000000009598: D3F300A4 1E925592
	v_mfma_f32_16x16x32_fp8_fp8 v[164:167], a[148:149], a[44:45], v[164:167]// 0000000095A0: D3F300A4 1E925994
	v_mfma_f32_16x16x32_fp8_fp8 v[164:167], a[150:151], a[46:47], v[164:167]// 0000000095A8: D3F300A4 1E925D96
	v_mfma_f32_16x16x32_fp8_fp8 v[196:199], a[152:153], a[40:41], v[196:199]// 0000000095B0: D3F300C4 1F125198
	v_mfma_f32_16x16x32_fp8_fp8 v[196:199], a[154:155], a[42:43], v[196:199]// 0000000095B8: D3F300C4 1F12559A
	v_mfma_f32_16x16x32_fp8_fp8 v[196:199], a[156:157], a[44:45], v[196:199]// 0000000095C0: D3F300C4 1F12599C
	v_mfma_f32_16x16x32_fp8_fp8 v[196:199], a[158:159], a[46:47], v[196:199]// 0000000095C8: D3F300C4 1F125D9E
	v_mfma_f32_16x16x32_fp8_fp8 v[168:171], a[144:145], a[48:49], v[168:171]// 0000000095D0: D3F300A8 1EA26190
	v_mfma_f32_16x16x32_fp8_fp8 v[168:171], a[146:147], a[50:51], v[168:171]// 0000000095D8: D3F300A8 1EA26592
	v_mfma_f32_16x16x32_fp8_fp8 v[168:171], a[148:149], a[52:53], v[168:171]// 0000000095E0: D3F300A8 1EA26994
	v_mfma_f32_16x16x32_fp8_fp8 v[168:171], a[150:151], a[54:55], v[168:171]// 0000000095E8: D3F300A8 1EA26D96
	v_mfma_f32_16x16x32_fp8_fp8 v[200:203], a[152:153], a[48:49], v[200:203]// 0000000095F0: D3F300C8 1F226198
	v_mfma_f32_16x16x32_fp8_fp8 v[200:203], a[154:155], a[50:51], v[200:203]// 0000000095F8: D3F300C8 1F22659A
	v_mfma_f32_16x16x32_fp8_fp8 v[200:203], a[156:157], a[52:53], v[200:203]// 000000009600: D3F300C8 1F22699C
	v_mfma_f32_16x16x32_fp8_fp8 v[200:203], a[158:159], a[54:55], v[200:203]// 000000009608: D3F300C8 1F226D9E
	v_mfma_f32_16x16x32_fp8_fp8 v[172:175], a[144:145], a[56:57], v[172:175]// 000000009610: D3F300AC 1EB27190
	v_mfma_f32_16x16x32_fp8_fp8 v[172:175], a[146:147], a[58:59], v[172:175]// 000000009618: D3F300AC 1EB27592
	v_mfma_f32_16x16x32_fp8_fp8 v[172:175], a[148:149], a[60:61], v[172:175]// 000000009620: D3F300AC 1EB27994
	s_add_u32 s60, 0x180, s80                                  // 000000009628: 803C50FF 00000180
	s_cmp_lt_u32 s60, s81                                      // 000000009630: BF0A513C
	s_cselect_b32 s57, s57, 0                                  // 000000009634: 85398039
	v_mfma_f32_16x16x32_fp8_fp8 v[172:175], a[150:151], a[62:63], v[172:175]// 000000009638: D3F300AC 1EB27D96
	s_add_u32 s60, 0x100, s80                                  // 000000009640: 803C50FF 00000100
	s_cmp_lt_u32 s60, s81                                      // 000000009648: BF0A513C
	s_cselect_b32 s58, s58, 0                                  // 00000000964C: 853A803A
	v_mfma_f32_16x16x32_fp8_fp8 v[204:207], a[152:153], a[56:57], v[204:207]// 000000009650: D3F300CC 1F327198
	s_add_u32 s24, s58, s24                                    // 000000009658: 8018183A
	s_addc_u32 s25, 0, s25                                     // 00000000965C: 82191980
	v_mfma_f32_16x16x32_fp8_fp8 v[204:207], a[154:155], a[58:59], v[204:207]// 000000009660: D3F300CC 1F32759A
	s_add_u32 s20, s57, s20                                    // 000000009668: 80141439
	s_addc_u32 s21, 0, s21                                     // 00000000966C: 82151580
	v_mfma_f32_16x16x32_fp8_fp8 v[204:207], a[156:157], a[60:61], v[204:207]// 000000009670: D3F300CC 1F32799C
	s_add_u32 s84, s83, s84                                    // 000000009678: 80545453
	s_addc_u32 s85, 0, s85                                     // 00000000967C: 82555580
	v_mfma_f32_16x16x32_fp8_fp8 v[204:207], a[158:159], a[62:63], v[204:207]// 000000009680: D3F300CC 1F327D9E
	s_addk_i32 s80, 0x80                                       // 000000009688: B7500080
	s_cmp_lt_i32 s80, s81                                      // 00000000968C: BF045150
	s_cbranch_scc0 label_1CB1                                  // 000000009690: BF840189
	s_waitcnt vmcnt(2) lgkmcnt(0)                              // 000000009694: BF8C0072
	s_barrier                                                  // 000000009698: BF8A0000
	v_mfma_f32_16x16x32_fp8_fp8 v[80:83], a[128:129], a[64:65], v[80:83]// 00000000969C: D3F30050 1D428180
	buffer_load_dwordx4 a[144:147], v76, s[84:87], 0 offen     // 0000000096A4: E05C1000 8095904C
	v_mfma_f32_16x16x32_fp8_fp8 v[80:83], a[130:131], a[66:67], v[80:83]// 0000000096AC: D3F30050 1D428582
	v_mfma_f32_16x16x32_fp8_fp8 v[80:83], a[132:133], a[68:69], v[80:83]// 0000000096B4: D3F30050 1D428984
	v_mfma_f32_16x16x32_fp8_fp8 v[80:83], a[134:135], a[70:71], v[80:83]// 0000000096BC: D3F30050 1D428D86
	v_mfma_f32_16x16x32_fp8_fp8 v[84:87], a[128:129], a[72:73], v[84:87]// 0000000096C4: D3F30054 1D529180
	buffer_load_dwordx4 a[148:151], v76, s[84:87], 0 offen offset:1024// 0000000096CC: E05C1400 8095944C
	v_mfma_f32_16x16x32_fp8_fp8 v[84:87], a[130:131], a[74:75], v[84:87]// 0000000096D4: D3F30054 1D529582
	v_mfma_f32_16x16x32_fp8_fp8 v[84:87], a[132:133], a[76:77], v[84:87]// 0000000096DC: D3F30054 1D529984
	v_mfma_f32_16x16x32_fp8_fp8 v[84:87], a[134:135], a[78:79], v[84:87]// 0000000096E4: D3F30054 1D529D86
	v_mfma_f32_16x16x32_fp8_fp8 v[88:91], a[128:129], a[80:81], v[88:91]// 0000000096EC: D3F30058 1D62A180
	buffer_load_dwordx4 a[152:155], v77, s[84:87], 0 offen     // 0000000096F4: E05C1000 8095984D
	v_mfma_f32_16x16x32_fp8_fp8 v[88:91], a[130:131], a[82:83], v[88:91]// 0000000096FC: D3F30058 1D62A582
	v_mfma_f32_16x16x32_fp8_fp8 v[88:91], a[132:133], a[84:85], v[88:91]// 000000009704: D3F30058 1D62A984
	v_mfma_f32_16x16x32_fp8_fp8 v[88:91], a[134:135], a[86:87], v[88:91]// 00000000970C: D3F30058 1D62AD86
	v_mfma_f32_16x16x32_fp8_fp8 v[92:95], a[128:129], a[88:89], v[92:95]// 000000009714: D3F3005C 1D72B180
	buffer_load_dwordx4 a[156:159], v77, s[84:87], 0 offen offset:1024// 00000000971C: E05C1400 80959C4D
	buffer_load_dword v60, s[20:23], 0 offen lds               // 000000009724: E0511000 8005003C
	s_add_u32 m0, 0x100, s49                                   // 00000000972C: 807C31FF 00000100
	v_mfma_f32_16x16x32_fp8_fp8 v[92:95], a[130:131], a[90:91], v[92:95]// 000000009734: D3F3005C 1D72B582
	v_mfma_f32_16x16x32_fp8_fp8 v[92:95], a[132:133], a[92:93], v[92:95]// 00000000973C: D3F3005C 1D72B984
	buffer_load_dword v61, s[20:23], 0 offen lds               // 000000009744: E0511000 8005003D
	s_add_u32 m0, 0x200, s49                                   // 00000000974C: 807C31FF 00000200
	v_mfma_f32_16x16x32_fp8_fp8 v[92:95], a[134:135], a[94:95], v[92:95]// 000000009754: D3F3005C 1D72BD86
	v_mfma_f32_16x16x32_fp8_fp8 v[96:99], a[128:129], a[96:97], v[96:99]// 00000000975C: D3F30060 1D82C180
	v_mfma_f32_16x16x32_fp8_fp8 v[96:99], a[130:131], a[98:99], v[96:99]// 000000009764: D3F30060 1D82C582
	v_mfma_f32_16x16x32_fp8_fp8 v[96:99], a[132:133], a[100:101], v[96:99]// 00000000976C: D3F30060 1D82C984
	v_mfma_f32_16x16x32_fp8_fp8 v[96:99], a[134:135], a[102:103], v[96:99]// 000000009774: D3F30060 1D82CD86
	v_mfma_f32_16x16x32_fp8_fp8 v[100:103], a[128:129], a[104:105], v[100:103]// 00000000977C: D3F30064 1D92D180
	buffer_load_dword v62, s[20:23], 0 offen lds               // 000000009784: E0511000 8005003E
	s_add_u32 m0, 0x300, s49                                   // 00000000978C: 807C31FF 00000300
	v_mfma_f32_16x16x32_fp8_fp8 v[100:103], a[130:131], a[106:107], v[100:103]// 000000009794: D3F30064 1D92D582
	v_mfma_f32_16x16x32_fp8_fp8 v[100:103], a[132:133], a[108:109], v[100:103]// 00000000979C: D3F30064 1D92D984
	buffer_load_dword v63, s[20:23], 0 offen lds               // 0000000097A4: E0511000 8005003F
	s_add_u32 m0, 0x400, s49                                   // 0000000097AC: 807C31FF 00000400
	v_mfma_f32_16x16x32_fp8_fp8 v[100:103], a[134:135], a[110:111], v[100:103]// 0000000097B4: D3F30064 1D92DD86
	v_mfma_f32_16x16x32_fp8_fp8 v[104:107], a[128:129], a[112:113], v[104:107]// 0000000097BC: D3F30068 1DA2E180
	v_mfma_f32_16x16x32_fp8_fp8 v[104:107], a[130:131], a[114:115], v[104:107]// 0000000097C4: D3F30068 1DA2E582
	v_mfma_f32_16x16x32_fp8_fp8 v[104:107], a[132:133], a[116:117], v[104:107]// 0000000097CC: D3F30068 1DA2E984
	v_mfma_f32_16x16x32_fp8_fp8 v[104:107], a[134:135], a[118:119], v[104:107]// 0000000097D4: D3F30068 1DA2ED86
	v_mfma_f32_16x16x32_fp8_fp8 v[108:111], a[128:129], a[120:121], v[108:111]// 0000000097DC: D3F3006C 1DB2F180
	buffer_load_dword v64, s[20:23], 0 offen lds               // 0000000097E4: E0511000 80050040
	s_add_u32 m0, 0x500, s49                                   // 0000000097EC: 807C31FF 00000500
	v_mfma_f32_16x16x32_fp8_fp8 v[108:111], a[130:131], a[122:123], v[108:111]// 0000000097F4: D3F3006C 1DB2F582
	v_mfma_f32_16x16x32_fp8_fp8 v[108:111], a[132:133], a[124:125], v[108:111]// 0000000097FC: D3F3006C 1DB2F984
	buffer_load_dword v65, s[20:23], 0 offen lds               // 000000009804: E0511000 80050041
	s_add_u32 m0, 0x600, s49                                   // 00000000980C: 807C31FF 00000600
	v_mfma_f32_16x16x32_fp8_fp8 v[108:111], a[134:135], a[126:127], v[108:111]// 000000009814: D3F3006C 1DB2FD86
	s_waitcnt vmcnt(10)                                        // 00000000981C: BF8C0F7A
	v_mfma_f32_16x16x32_fp8_fp8 v[112:115], a[136:137], a[64:65], v[112:115]// 000000009820: D3F30070 1DC28188
	buffer_load_dword v66, s[20:23], 0 offen lds               // 000000009828: E0511000 80050042
	s_add_u32 m0, 0x700, s49                                   // 000000009830: 807C31FF 00000700
	v_mfma_f32_16x16x32_fp8_fp8 v[112:115], a[138:139], a[66:67], v[112:115]// 000000009838: D3F30070 1DC2858A
	v_mfma_f32_16x16x32_fp8_fp8 v[112:115], a[140:141], a[68:69], v[112:115]// 000000009840: D3F30070 1DC2898C
	buffer_load_dword v67, s[20:23], 0 offen lds               // 000000009848: E0511000 80050043
	s_add_u32 m0, 0x800, s49                                   // 000000009850: 807C31FF 00000800
	v_mfma_f32_16x16x32_fp8_fp8 v[112:115], a[142:143], a[70:71], v[112:115]// 000000009858: D3F30070 1DC28D8E
	v_mfma_f32_16x16x32_fp8_fp8 v[116:119], a[136:137], a[72:73], v[116:119]// 000000009860: D3F30074 1DD29188
	buffer_load_dword v68, s[20:23], 0 offen lds               // 000000009868: E0511000 80050044
	s_add_u32 m0, 0x900, s49                                   // 000000009870: 807C31FF 00000900
	v_mfma_f32_16x16x32_fp8_fp8 v[116:119], a[138:139], a[74:75], v[116:119]// 000000009878: D3F30074 1DD2958A
	v_mfma_f32_16x16x32_fp8_fp8 v[116:119], a[140:141], a[76:77], v[116:119]// 000000009880: D3F30074 1DD2998C
	buffer_load_dword v69, s[20:23], 0 offen lds               // 000000009888: E0511000 80050045
	s_add_u32 m0, 0xa00, s49                                   // 000000009890: 807C31FF 00000A00
	v_mfma_f32_16x16x32_fp8_fp8 v[116:119], a[142:143], a[78:79], v[116:119]// 000000009898: D3F30074 1DD29D8E
	v_mfma_f32_16x16x32_fp8_fp8 v[120:123], a[136:137], a[80:81], v[120:123]// 0000000098A0: D3F30078 1DE2A188
	buffer_load_dword v70, s[20:23], 0 offen lds               // 0000000098A8: E0511000 80050046
	s_add_u32 m0, 0xb00, s49                                   // 0000000098B0: 807C31FF 00000B00
	v_mfma_f32_16x16x32_fp8_fp8 v[120:123], a[138:139], a[82:83], v[120:123]// 0000000098B8: D3F30078 1DE2A58A
	v_mfma_f32_16x16x32_fp8_fp8 v[120:123], a[140:141], a[84:85], v[120:123]// 0000000098C0: D3F30078 1DE2A98C
	buffer_load_dword v71, s[20:23], 0 offen lds               // 0000000098C8: E0511000 80050047
	s_add_u32 m0, 0xc00, s49                                   // 0000000098D0: 807C31FF 00000C00
	v_mfma_f32_16x16x32_fp8_fp8 v[120:123], a[142:143], a[86:87], v[120:123]// 0000000098D8: D3F30078 1DE2AD8E
	v_mfma_f32_16x16x32_fp8_fp8 v[124:127], a[136:137], a[88:89], v[124:127]// 0000000098E0: D3F3007C 1DF2B188
	buffer_load_dword v72, s[20:23], 0 offen lds               // 0000000098E8: E0511000 80050048
	s_add_u32 m0, 0xd00, s49                                   // 0000000098F0: 807C31FF 00000D00
	v_mfma_f32_16x16x32_fp8_fp8 v[124:127], a[138:139], a[90:91], v[124:127]// 0000000098F8: D3F3007C 1DF2B58A
	v_mfma_f32_16x16x32_fp8_fp8 v[124:127], a[140:141], a[92:93], v[124:127]// 000000009900: D3F3007C 1DF2B98C
	buffer_load_dword v73, s[20:23], 0 offen lds               // 000000009908: E0511000 80050049
	s_add_u32 m0, 0xe00, s49                                   // 000000009910: 807C31FF 00000E00
	v_mfma_f32_16x16x32_fp8_fp8 v[124:127], a[142:143], a[94:95], v[124:127]// 000000009918: D3F3007C 1DF2BD8E
	v_mfma_f32_16x16x32_fp8_fp8 v[128:131], a[136:137], a[96:97], v[128:131]// 000000009920: D3F30080 1E02C188
	v_mfma_f32_16x16x32_fp8_fp8 v[128:131], a[138:139], a[98:99], v[128:131]// 000000009928: D3F30080 1E02C58A
	v_mfma_f32_16x16x32_fp8_fp8 v[128:131], a[140:141], a[100:101], v[128:131]// 000000009930: D3F30080 1E02C98C
	v_mfma_f32_16x16x32_fp8_fp8 v[128:131], a[142:143], a[102:103], v[128:131]// 000000009938: D3F30080 1E02CD8E
	v_mfma_f32_16x16x32_fp8_fp8 v[132:135], a[136:137], a[104:105], v[132:135]// 000000009940: D3F30084 1E12D188
	buffer_load_dword v74, s[20:23], 0 offen lds               // 000000009948: E0511000 8005004A
	s_add_u32 m0, 0xf00, s49                                   // 000000009950: 807C31FF 00000F00
	v_mfma_f32_16x16x32_fp8_fp8 v[132:135], a[138:139], a[106:107], v[132:135]// 000000009958: D3F30084 1E12D58A
	v_mfma_f32_16x16x32_fp8_fp8 v[132:135], a[140:141], a[108:109], v[132:135]// 000000009960: D3F30084 1E12D98C
	buffer_load_dword v75, s[20:23], 0 offen lds               // 000000009968: E0511000 8005004B
	s_add_u32 m0, 0, s48                                       // 000000009970: 807C3080
	v_mfma_f32_16x16x32_fp8_fp8 v[132:135], a[142:143], a[110:111], v[132:135]// 000000009974: D3F30084 1E12DD8E
	v_mfma_f32_16x16x32_fp8_fp8 v[136:139], a[136:137], a[112:113], v[136:139]// 00000000997C: D3F30088 1E22E188
	v_mfma_f32_16x16x32_fp8_fp8 v[136:139], a[138:139], a[114:115], v[136:139]// 000000009984: D3F30088 1E22E58A
	v_mfma_f32_16x16x32_fp8_fp8 v[136:139], a[140:141], a[116:117], v[136:139]// 00000000998C: D3F30088 1E22E98C
	v_mfma_f32_16x16x32_fp8_fp8 v[136:139], a[142:143], a[118:119], v[136:139]// 000000009994: D3F30088 1E22ED8E
	v_mfma_f32_16x16x32_fp8_fp8 v[140:143], a[136:137], a[120:121], v[140:143]// 00000000999C: D3F3008C 1E32F188
	v_mfma_f32_16x16x32_fp8_fp8 v[140:143], a[138:139], a[122:123], v[140:143]// 0000000099A4: D3F3008C 1E32F58A
	s_add_u32 s60, 0x80, s80                                   // 0000000099AC: 803C50FF 00000080
	s_cmp_lt_u32 s60, s81                                      // 0000000099B4: BF0A513C
	s_cselect_b32 s83, s83, 0                                  // 0000000099B8: 85538053
	v_mfma_f32_16x16x32_fp8_fp8 v[140:143], a[140:141], a[124:125], v[140:143]// 0000000099BC: D3F3008C 1E32F98C
	v_mfma_f32_16x16x32_fp8_fp8 v[140:143], a[142:143], a[126:127], v[140:143]// 0000000099C4: D3F3008C 1E32FD8E
	s_waitcnt vmcnt(16)                                        // 0000000099CC: BF8C4F70
	v_mfma_f32_16x16x32_fp8_fp8 v[144:147], a[144:145], a[64:65], v[144:147]// 0000000099D0: D3F30090 1E428190
	buffer_load_dwordx4 a[128:131], v76, s[24:27], 0 offen     // 0000000099D8: E05C1000 8086804C
	v_mfma_f32_16x16x32_fp8_fp8 v[144:147], a[146:147], a[66:67], v[144:147]// 0000000099E0: D3F30090 1E428592
	v_mfma_f32_16x16x32_fp8_fp8 v[144:147], a[148:149], a[68:69], v[144:147]// 0000000099E8: D3F30090 1E428994
	ds_read_b128 a[0:3], v2                                    // 0000000099F0: DBFE0000 00000002
	ds_read_b128 a[4:7], v2 offset:64                          // 0000000099F8: DBFE0040 04000002
	v_mfma_f32_16x16x32_fp8_fp8 v[144:147], a[150:151], a[70:71], v[144:147]// 000000009A00: D3F30090 1E428D96
	v_mfma_f32_16x16x32_fp8_fp8 v[176:179], a[152:153], a[64:65], v[176:179]// 000000009A08: D3F300B0 1EC28198
	buffer_load_dwordx4 a[132:135], v76, s[24:27], 0 offen offset:1024// 000000009A10: E05C1400 8086844C
	v_mfma_f32_16x16x32_fp8_fp8 v[176:179], a[154:155], a[66:67], v[176:179]// 000000009A18: D3F300B0 1EC2859A
	v_mfma_f32_16x16x32_fp8_fp8 v[176:179], a[156:157], a[68:69], v[176:179]// 000000009A20: D3F300B0 1EC2899C
	ds_read_b128 a[8:11], v2 offset:512                        // 000000009A28: DBFE0200 08000002
	ds_read_b128 a[12:15], v2 offset:576                       // 000000009A30: DBFE0240 0C000002
	v_mfma_f32_16x16x32_fp8_fp8 v[176:179], a[158:159], a[70:71], v[176:179]// 000000009A38: D3F300B0 1EC28D9E
	v_mfma_f32_16x16x32_fp8_fp8 v[148:151], a[144:145], a[72:73], v[148:151]// 000000009A40: D3F30094 1E529190
	buffer_load_dwordx4 a[136:139], v77, s[24:27], 0 offen     // 000000009A48: E05C1000 8086884D
	v_mfma_f32_16x16x32_fp8_fp8 v[148:151], a[146:147], a[74:75], v[148:151]// 000000009A50: D3F30094 1E529592
	v_mfma_f32_16x16x32_fp8_fp8 v[148:151], a[148:149], a[76:77], v[148:151]// 000000009A58: D3F30094 1E529994
	ds_read_b128 a[16:19], v2 offset:1024                      // 000000009A60: DBFE0400 10000002
	ds_read_b128 a[20:23], v2 offset:1088                      // 000000009A68: DBFE0440 14000002
	v_mfma_f32_16x16x32_fp8_fp8 v[148:151], a[150:151], a[78:79], v[148:151]// 000000009A70: D3F30094 1E529D96
	v_mfma_f32_16x16x32_fp8_fp8 v[180:183], a[152:153], a[72:73], v[180:183]// 000000009A78: D3F300B4 1ED29198
	buffer_load_dwordx4 a[140:143], v77, s[24:27], 0 offen offset:1024// 000000009A80: E05C1400 80868C4D
	v_mfma_f32_16x16x32_fp8_fp8 v[180:183], a[154:155], a[74:75], v[180:183]// 000000009A88: D3F300B4 1ED2959A
	v_mfma_f32_16x16x32_fp8_fp8 v[180:183], a[156:157], a[76:77], v[180:183]// 000000009A90: D3F300B4 1ED2999C
	ds_read_b128 a[24:27], v2 offset:1536                      // 000000009A98: DBFE0600 18000002
	ds_read_b128 a[28:31], v2 offset:1600                      // 000000009AA0: DBFE0640 1C000002
	v_mfma_f32_16x16x32_fp8_fp8 v[180:183], a[158:159], a[78:79], v[180:183]// 000000009AA8: D3F300B4 1ED29D9E
	v_mfma_f32_16x16x32_fp8_fp8 v[152:155], a[144:145], a[80:81], v[152:155]// 000000009AB0: D3F30098 1E62A190
	v_mfma_f32_16x16x32_fp8_fp8 v[152:155], a[146:147], a[82:83], v[152:155]// 000000009AB8: D3F30098 1E62A592
	v_mfma_f32_16x16x32_fp8_fp8 v[152:155], a[148:149], a[84:85], v[152:155]// 000000009AC0: D3F30098 1E62A994
	ds_read_b128 a[32:35], v2 offset:2048                      // 000000009AC8: DBFE0800 20000002
	ds_read_b128 a[36:39], v2 offset:2112                      // 000000009AD0: DBFE0840 24000002
	v_mfma_f32_16x16x32_fp8_fp8 v[152:155], a[150:151], a[86:87], v[152:155]// 000000009AD8: D3F30098 1E62AD96
	v_mfma_f32_16x16x32_fp8_fp8 v[184:187], a[152:153], a[80:81], v[184:187]// 000000009AE0: D3F300B8 1EE2A198
	v_mfma_f32_16x16x32_fp8_fp8 v[184:187], a[154:155], a[82:83], v[184:187]// 000000009AE8: D3F300B8 1EE2A59A
	v_mfma_f32_16x16x32_fp8_fp8 v[184:187], a[156:157], a[84:85], v[184:187]// 000000009AF0: D3F300B8 1EE2A99C
	ds_read_b128 a[40:43], v2 offset:2560                      // 000000009AF8: DBFE0A00 28000002
	ds_read_b128 a[44:47], v2 offset:2624                      // 000000009B00: DBFE0A40 2C000002
	v_mfma_f32_16x16x32_fp8_fp8 v[184:187], a[158:159], a[86:87], v[184:187]// 000000009B08: D3F300B8 1EE2AD9E
	v_mfma_f32_16x16x32_fp8_fp8 v[156:159], a[144:145], a[88:89], v[156:159]// 000000009B10: D3F3009C 1E72B190
	v_mfma_f32_16x16x32_fp8_fp8 v[156:159], a[146:147], a[90:91], v[156:159]// 000000009B18: D3F3009C 1E72B592
	v_mfma_f32_16x16x32_fp8_fp8 v[156:159], a[148:149], a[92:93], v[156:159]// 000000009B20: D3F3009C 1E72B994
	ds_read_b128 a[48:51], v2 offset:3072                      // 000000009B28: DBFE0C00 30000002
	ds_read_b128 a[52:55], v2 offset:3136                      // 000000009B30: DBFE0C40 34000002
	v_mfma_f32_16x16x32_fp8_fp8 v[156:159], a[150:151], a[94:95], v[156:159]// 000000009B38: D3F3009C 1E72BD96
	v_mfma_f32_16x16x32_fp8_fp8 v[188:191], a[152:153], a[88:89], v[188:191]// 000000009B40: D3F300BC 1EF2B198
	v_mfma_f32_16x16x32_fp8_fp8 v[188:191], a[154:155], a[90:91], v[188:191]// 000000009B48: D3F300BC 1EF2B59A
	v_mfma_f32_16x16x32_fp8_fp8 v[188:191], a[156:157], a[92:93], v[188:191]// 000000009B50: D3F300BC 1EF2B99C
	ds_read_b128 a[56:59], v2 offset:3584                      // 000000009B58: DBFE0E00 38000002
	ds_read_b128 a[60:63], v2 offset:3648                      // 000000009B60: DBFE0E40 3C000002
	v_mfma_f32_16x16x32_fp8_fp8 v[188:191], a[158:159], a[94:95], v[188:191]// 000000009B68: D3F300BC 1EF2BD9E
	v_mfma_f32_16x16x32_fp8_fp8 v[160:163], a[144:145], a[96:97], v[160:163]// 000000009B70: D3F300A0 1E82C190
	v_mfma_f32_16x16x32_fp8_fp8 v[160:163], a[146:147], a[98:99], v[160:163]// 000000009B78: D3F300A0 1E82C592
	v_mfma_f32_16x16x32_fp8_fp8 v[160:163], a[148:149], a[100:101], v[160:163]// 000000009B80: D3F300A0 1E82C994
	v_mfma_f32_16x16x32_fp8_fp8 v[160:163], a[150:151], a[102:103], v[160:163]// 000000009B88: D3F300A0 1E82CD96
	v_mfma_f32_16x16x32_fp8_fp8 v[192:195], a[152:153], a[96:97], v[192:195]// 000000009B90: D3F300C0 1F02C198
	v_mfma_f32_16x16x32_fp8_fp8 v[192:195], a[154:155], a[98:99], v[192:195]// 000000009B98: D3F300C0 1F02C59A
	v_mfma_f32_16x16x32_fp8_fp8 v[192:195], a[156:157], a[100:101], v[192:195]// 000000009BA0: D3F300C0 1F02C99C
	v_mfma_f32_16x16x32_fp8_fp8 v[192:195], a[158:159], a[102:103], v[192:195]// 000000009BA8: D3F300C0 1F02CD9E
	v_mfma_f32_16x16x32_fp8_fp8 v[164:167], a[144:145], a[104:105], v[164:167]// 000000009BB0: D3F300A4 1E92D190
	v_mfma_f32_16x16x32_fp8_fp8 v[164:167], a[146:147], a[106:107], v[164:167]// 000000009BB8: D3F300A4 1E92D592
	v_mfma_f32_16x16x32_fp8_fp8 v[164:167], a[148:149], a[108:109], v[164:167]// 000000009BC0: D3F300A4 1E92D994
	v_mfma_f32_16x16x32_fp8_fp8 v[164:167], a[150:151], a[110:111], v[164:167]// 000000009BC8: D3F300A4 1E92DD96
	v_mfma_f32_16x16x32_fp8_fp8 v[196:199], a[152:153], a[104:105], v[196:199]// 000000009BD0: D3F300C4 1F12D198
	v_mfma_f32_16x16x32_fp8_fp8 v[196:199], a[154:155], a[106:107], v[196:199]// 000000009BD8: D3F300C4 1F12D59A
	v_mfma_f32_16x16x32_fp8_fp8 v[196:199], a[156:157], a[108:109], v[196:199]// 000000009BE0: D3F300C4 1F12D99C
	v_mfma_f32_16x16x32_fp8_fp8 v[196:199], a[158:159], a[110:111], v[196:199]// 000000009BE8: D3F300C4 1F12DD9E
	v_mfma_f32_16x16x32_fp8_fp8 v[168:171], a[144:145], a[112:113], v[168:171]// 000000009BF0: D3F300A8 1EA2E190
	v_mfma_f32_16x16x32_fp8_fp8 v[168:171], a[146:147], a[114:115], v[168:171]// 000000009BF8: D3F300A8 1EA2E592
	v_mfma_f32_16x16x32_fp8_fp8 v[168:171], a[148:149], a[116:117], v[168:171]// 000000009C00: D3F300A8 1EA2E994
	v_mfma_f32_16x16x32_fp8_fp8 v[168:171], a[150:151], a[118:119], v[168:171]// 000000009C08: D3F300A8 1EA2ED96
	v_mfma_f32_16x16x32_fp8_fp8 v[200:203], a[152:153], a[112:113], v[200:203]// 000000009C10: D3F300C8 1F22E198
	v_mfma_f32_16x16x32_fp8_fp8 v[200:203], a[154:155], a[114:115], v[200:203]// 000000009C18: D3F300C8 1F22E59A
	v_mfma_f32_16x16x32_fp8_fp8 v[200:203], a[156:157], a[116:117], v[200:203]// 000000009C20: D3F300C8 1F22E99C
	v_mfma_f32_16x16x32_fp8_fp8 v[200:203], a[158:159], a[118:119], v[200:203]// 000000009C28: D3F300C8 1F22ED9E
	v_mfma_f32_16x16x32_fp8_fp8 v[172:175], a[144:145], a[120:121], v[172:175]// 000000009C30: D3F300AC 1EB2F190
	v_mfma_f32_16x16x32_fp8_fp8 v[172:175], a[146:147], a[122:123], v[172:175]// 000000009C38: D3F300AC 1EB2F592
	v_mfma_f32_16x16x32_fp8_fp8 v[172:175], a[148:149], a[124:125], v[172:175]// 000000009C40: D3F300AC 1EB2F994
	s_add_u32 s60, 0x180, s80                                  // 000000009C48: 803C50FF 00000180
	s_cmp_lt_u32 s60, s81                                      // 000000009C50: BF0A513C
	s_cselect_b32 s57, s57, 0                                  // 000000009C54: 85398039
	v_mfma_f32_16x16x32_fp8_fp8 v[172:175], a[150:151], a[126:127], v[172:175]// 000000009C58: D3F300AC 1EB2FD96
	s_add_u32 s60, 0x100, s80                                  // 000000009C60: 803C50FF 00000100
	s_cmp_lt_u32 s60, s81                                      // 000000009C68: BF0A513C
	s_cselect_b32 s58, s58, 0                                  // 000000009C6C: 853A803A
	v_mfma_f32_16x16x32_fp8_fp8 v[204:207], a[152:153], a[120:121], v[204:207]// 000000009C70: D3F300CC 1F32F198
	s_add_u32 s24, s58, s24                                    // 000000009C78: 8018183A
	s_addc_u32 s25, 0, s25                                     // 000000009C7C: 82191980
	v_mfma_f32_16x16x32_fp8_fp8 v[204:207], a[154:155], a[122:123], v[204:207]// 000000009C80: D3F300CC 1F32F59A
	s_add_u32 s20, s57, s20                                    // 000000009C88: 80141439
	s_addc_u32 s21, 0, s21                                     // 000000009C8C: 82151580
	v_mfma_f32_16x16x32_fp8_fp8 v[204:207], a[156:157], a[124:125], v[204:207]// 000000009C90: D3F300CC 1F32F99C
	s_add_u32 s84, s83, s84                                    // 000000009C98: 80545453
	s_addc_u32 s85, 0, s85                                     // 000000009C9C: 82555580
	v_mfma_f32_16x16x32_fp8_fp8 v[204:207], a[158:159], a[126:127], v[204:207]// 000000009CA0: D3F300CC 1F32FD9E
	s_addk_i32 s80, 0x80                                       // 000000009CA8: B7500080
	s_cmp_lt_i32 s80, s81                                      // 000000009CAC: BF045150
	s_cbranch_scc0 label_1CB1                                  // 000000009CB0: BF840001
	s_branch label_19A0                                        // 000000009CB4: BF82FCEF

0000000000009cb8 <label_1CB1>:
	v_mul_f32_dpp v80, v24, v80 row_newbcast:0 row_mask:0xf bank_mask:0xf// 000000009CB8: 0AA0A0FA FF015018
	v_mul_f32_dpp v81, v24, v81 row_newbcast:1 row_mask:0xf bank_mask:0xf// 000000009CC0: 0AA2A2FA FF015118
	v_mul_f32_dpp v82, v24, v82 row_newbcast:2 row_mask:0xf bank_mask:0xf// 000000009CC8: 0AA4A4FA FF015218
	v_mul_f32_dpp v83, v24, v83 row_newbcast:3 row_mask:0xf bank_mask:0xf// 000000009CD0: 0AA6A6FA FF015318
	v_mul_f32_dpp v84, v24, v84 row_newbcast:0 row_mask:0xf bank_mask:0xf// 000000009CD8: 0AA8A8FA FF015018
	v_mul_f32_dpp v85, v24, v85 row_newbcast:1 row_mask:0xf bank_mask:0xf// 000000009CE0: 0AAAAAFA FF015118
	v_mul_f32_dpp v86, v24, v86 row_newbcast:2 row_mask:0xf bank_mask:0xf// 000000009CE8: 0AACACFA FF015218
	v_mul_f32_dpp v87, v24, v87 row_newbcast:3 row_mask:0xf bank_mask:0xf// 000000009CF0: 0AAEAEFA FF015318
	v_mul_f32_dpp v88, v24, v88 row_newbcast:0 row_mask:0xf bank_mask:0xf// 000000009CF8: 0AB0B0FA FF015018
	v_mul_f32_dpp v89, v24, v89 row_newbcast:1 row_mask:0xf bank_mask:0xf// 000000009D00: 0AB2B2FA FF015118
	v_mul_f32_dpp v90, v24, v90 row_newbcast:2 row_mask:0xf bank_mask:0xf// 000000009D08: 0AB4B4FA FF015218
	v_mul_f32_dpp v91, v24, v91 row_newbcast:3 row_mask:0xf bank_mask:0xf// 000000009D10: 0AB6B6FA FF015318
	v_mul_f32_dpp v92, v24, v92 row_newbcast:0 row_mask:0xf bank_mask:0xf// 000000009D18: 0AB8B8FA FF015018
	v_mul_f32_dpp v93, v24, v93 row_newbcast:1 row_mask:0xf bank_mask:0xf// 000000009D20: 0ABABAFA FF015118
	v_mul_f32_dpp v94, v24, v94 row_newbcast:2 row_mask:0xf bank_mask:0xf// 000000009D28: 0ABCBCFA FF015218
	v_mul_f32_dpp v95, v24, v95 row_newbcast:3 row_mask:0xf bank_mask:0xf// 000000009D30: 0ABEBEFA FF015318
	v_mul_f32_dpp v96, v24, v96 row_newbcast:0 row_mask:0xf bank_mask:0xf// 000000009D38: 0AC0C0FA FF015018
	v_mul_f32_dpp v97, v24, v97 row_newbcast:1 row_mask:0xf bank_mask:0xf// 000000009D40: 0AC2C2FA FF015118
	v_mul_f32_dpp v98, v24, v98 row_newbcast:2 row_mask:0xf bank_mask:0xf// 000000009D48: 0AC4C4FA FF015218
	v_mul_f32_dpp v99, v24, v99 row_newbcast:3 row_mask:0xf bank_mask:0xf// 000000009D50: 0AC6C6FA FF015318
	v_mul_f32_dpp v100, v24, v100 row_newbcast:0 row_mask:0xf bank_mask:0xf// 000000009D58: 0AC8C8FA FF015018
	v_mul_f32_dpp v101, v24, v101 row_newbcast:1 row_mask:0xf bank_mask:0xf// 000000009D60: 0ACACAFA FF015118
	v_mul_f32_dpp v102, v24, v102 row_newbcast:2 row_mask:0xf bank_mask:0xf// 000000009D68: 0ACCCCFA FF015218
	v_mul_f32_dpp v103, v24, v103 row_newbcast:3 row_mask:0xf bank_mask:0xf// 000000009D70: 0ACECEFA FF015318
	v_mul_f32_dpp v104, v24, v104 row_newbcast:0 row_mask:0xf bank_mask:0xf// 000000009D78: 0AD0D0FA FF015018
	v_mul_f32_dpp v105, v24, v105 row_newbcast:1 row_mask:0xf bank_mask:0xf// 000000009D80: 0AD2D2FA FF015118
	v_mul_f32_dpp v106, v24, v106 row_newbcast:2 row_mask:0xf bank_mask:0xf// 000000009D88: 0AD4D4FA FF015218
	v_mul_f32_dpp v107, v24, v107 row_newbcast:3 row_mask:0xf bank_mask:0xf// 000000009D90: 0AD6D6FA FF015318
	v_mul_f32_dpp v108, v24, v108 row_newbcast:0 row_mask:0xf bank_mask:0xf// 000000009D98: 0AD8D8FA FF015018
	v_mul_f32_dpp v109, v24, v109 row_newbcast:1 row_mask:0xf bank_mask:0xf// 000000009DA0: 0ADADAFA FF015118
	v_mul_f32_dpp v110, v24, v110 row_newbcast:2 row_mask:0xf bank_mask:0xf// 000000009DA8: 0ADCDCFA FF015218
	v_mul_f32_dpp v111, v24, v111 row_newbcast:3 row_mask:0xf bank_mask:0xf// 000000009DB0: 0ADEDEFA FF015318
	v_mul_f32_dpp v112, v24, v112 row_newbcast:4 row_mask:0xf bank_mask:0xf// 000000009DB8: 0AE0E0FA FF015418
	v_mul_f32_dpp v113, v24, v113 row_newbcast:5 row_mask:0xf bank_mask:0xf// 000000009DC0: 0AE2E2FA FF015518
	v_mul_f32_dpp v114, v24, v114 row_newbcast:6 row_mask:0xf bank_mask:0xf// 000000009DC8: 0AE4E4FA FF015618
	v_mul_f32_dpp v115, v24, v115 row_newbcast:7 row_mask:0xf bank_mask:0xf// 000000009DD0: 0AE6E6FA FF015718
	v_mul_f32_dpp v116, v24, v116 row_newbcast:4 row_mask:0xf bank_mask:0xf// 000000009DD8: 0AE8E8FA FF015418
	v_mul_f32_dpp v117, v24, v117 row_newbcast:5 row_mask:0xf bank_mask:0xf// 000000009DE0: 0AEAEAFA FF015518
	v_mul_f32_dpp v118, v24, v118 row_newbcast:6 row_mask:0xf bank_mask:0xf// 000000009DE8: 0AECECFA FF015618
	v_mul_f32_dpp v119, v24, v119 row_newbcast:7 row_mask:0xf bank_mask:0xf// 000000009DF0: 0AEEEEFA FF015718
	v_mul_f32_dpp v120, v24, v120 row_newbcast:4 row_mask:0xf bank_mask:0xf// 000000009DF8: 0AF0F0FA FF015418
	v_mul_f32_dpp v121, v24, v121 row_newbcast:5 row_mask:0xf bank_mask:0xf// 000000009E00: 0AF2F2FA FF015518
	v_mul_f32_dpp v122, v24, v122 row_newbcast:6 row_mask:0xf bank_mask:0xf// 000000009E08: 0AF4F4FA FF015618
	v_mul_f32_dpp v123, v24, v123 row_newbcast:7 row_mask:0xf bank_mask:0xf// 000000009E10: 0AF6F6FA FF015718
	v_mul_f32_dpp v124, v24, v124 row_newbcast:4 row_mask:0xf bank_mask:0xf// 000000009E18: 0AF8F8FA FF015418
	v_mul_f32_dpp v125, v24, v125 row_newbcast:5 row_mask:0xf bank_mask:0xf// 000000009E20: 0AFAFAFA FF015518
	v_mul_f32_dpp v126, v24, v126 row_newbcast:6 row_mask:0xf bank_mask:0xf// 000000009E28: 0AFCFCFA FF015618
	v_mul_f32_dpp v127, v24, v127 row_newbcast:7 row_mask:0xf bank_mask:0xf// 000000009E30: 0AFEFEFA FF015718
	v_mul_f32_dpp v128, v24, v128 row_newbcast:4 row_mask:0xf bank_mask:0xf// 000000009E38: 0B0100FA FF015418
	v_mul_f32_dpp v129, v24, v129 row_newbcast:5 row_mask:0xf bank_mask:0xf// 000000009E40: 0B0302FA FF015518
	v_mul_f32_dpp v130, v24, v130 row_newbcast:6 row_mask:0xf bank_mask:0xf// 000000009E48: 0B0504FA FF015618
	v_mul_f32_dpp v131, v24, v131 row_newbcast:7 row_mask:0xf bank_mask:0xf// 000000009E50: 0B0706FA FF015718
	v_mul_f32_dpp v132, v24, v132 row_newbcast:4 row_mask:0xf bank_mask:0xf// 000000009E58: 0B0908FA FF015418
	v_mul_f32_dpp v133, v24, v133 row_newbcast:5 row_mask:0xf bank_mask:0xf// 000000009E60: 0B0B0AFA FF015518
	v_mul_f32_dpp v134, v24, v134 row_newbcast:6 row_mask:0xf bank_mask:0xf// 000000009E68: 0B0D0CFA FF015618
	v_mul_f32_dpp v135, v24, v135 row_newbcast:7 row_mask:0xf bank_mask:0xf// 000000009E70: 0B0F0EFA FF015718
	v_mul_f32_dpp v136, v24, v136 row_newbcast:4 row_mask:0xf bank_mask:0xf// 000000009E78: 0B1110FA FF015418
	v_mul_f32_dpp v137, v24, v137 row_newbcast:5 row_mask:0xf bank_mask:0xf// 000000009E80: 0B1312FA FF015518
	v_mul_f32_dpp v138, v24, v138 row_newbcast:6 row_mask:0xf bank_mask:0xf// 000000009E88: 0B1514FA FF015618
	v_mul_f32_dpp v139, v24, v139 row_newbcast:7 row_mask:0xf bank_mask:0xf// 000000009E90: 0B1716FA FF015718
	v_mul_f32_dpp v140, v24, v140 row_newbcast:4 row_mask:0xf bank_mask:0xf// 000000009E98: 0B1918FA FF015418
	v_mul_f32_dpp v141, v24, v141 row_newbcast:5 row_mask:0xf bank_mask:0xf// 000000009EA0: 0B1B1AFA FF015518
	v_mul_f32_dpp v142, v24, v142 row_newbcast:6 row_mask:0xf bank_mask:0xf// 000000009EA8: 0B1D1CFA FF015618
	v_mul_f32_dpp v143, v24, v143 row_newbcast:7 row_mask:0xf bank_mask:0xf// 000000009EB0: 0B1F1EFA FF015718
	v_mul_f32_dpp v144, v26, v144 row_newbcast:0 row_mask:0xf bank_mask:0xf// 000000009EB8: 0B2120FA FF01501A
	v_mul_f32_dpp v145, v26, v145 row_newbcast:1 row_mask:0xf bank_mask:0xf// 000000009EC0: 0B2322FA FF01511A
	v_mul_f32_dpp v146, v26, v146 row_newbcast:2 row_mask:0xf bank_mask:0xf// 000000009EC8: 0B2524FA FF01521A
	v_mul_f32_dpp v147, v26, v147 row_newbcast:3 row_mask:0xf bank_mask:0xf// 000000009ED0: 0B2726FA FF01531A
	v_mul_f32_dpp v148, v26, v148 row_newbcast:0 row_mask:0xf bank_mask:0xf// 000000009ED8: 0B2928FA FF01501A
	v_mul_f32_dpp v149, v26, v149 row_newbcast:1 row_mask:0xf bank_mask:0xf// 000000009EE0: 0B2B2AFA FF01511A
	v_mul_f32_dpp v150, v26, v150 row_newbcast:2 row_mask:0xf bank_mask:0xf// 000000009EE8: 0B2D2CFA FF01521A
	v_mul_f32_dpp v151, v26, v151 row_newbcast:3 row_mask:0xf bank_mask:0xf// 000000009EF0: 0B2F2EFA FF01531A
	v_mul_f32_dpp v152, v26, v152 row_newbcast:0 row_mask:0xf bank_mask:0xf// 000000009EF8: 0B3130FA FF01501A
	v_mul_f32_dpp v153, v26, v153 row_newbcast:1 row_mask:0xf bank_mask:0xf// 000000009F00: 0B3332FA FF01511A
	v_mul_f32_dpp v154, v26, v154 row_newbcast:2 row_mask:0xf bank_mask:0xf// 000000009F08: 0B3534FA FF01521A
	v_mul_f32_dpp v155, v26, v155 row_newbcast:3 row_mask:0xf bank_mask:0xf// 000000009F10: 0B3736FA FF01531A
	v_mul_f32_dpp v156, v26, v156 row_newbcast:0 row_mask:0xf bank_mask:0xf// 000000009F18: 0B3938FA FF01501A
	v_mul_f32_dpp v157, v26, v157 row_newbcast:1 row_mask:0xf bank_mask:0xf// 000000009F20: 0B3B3AFA FF01511A
	v_mul_f32_dpp v158, v26, v158 row_newbcast:2 row_mask:0xf bank_mask:0xf// 000000009F28: 0B3D3CFA FF01521A
	v_mul_f32_dpp v159, v26, v159 row_newbcast:3 row_mask:0xf bank_mask:0xf// 000000009F30: 0B3F3EFA FF01531A
	v_mul_f32_dpp v160, v26, v160 row_newbcast:0 row_mask:0xf bank_mask:0xf// 000000009F38: 0B4140FA FF01501A
	v_mul_f32_dpp v161, v26, v161 row_newbcast:1 row_mask:0xf bank_mask:0xf// 000000009F40: 0B4342FA FF01511A
	v_mul_f32_dpp v162, v26, v162 row_newbcast:2 row_mask:0xf bank_mask:0xf// 000000009F48: 0B4544FA FF01521A
	v_mul_f32_dpp v163, v26, v163 row_newbcast:3 row_mask:0xf bank_mask:0xf// 000000009F50: 0B4746FA FF01531A
	v_mul_f32_dpp v164, v26, v164 row_newbcast:0 row_mask:0xf bank_mask:0xf// 000000009F58: 0B4948FA FF01501A
	v_mul_f32_dpp v165, v26, v165 row_newbcast:1 row_mask:0xf bank_mask:0xf// 000000009F60: 0B4B4AFA FF01511A
	v_mul_f32_dpp v166, v26, v166 row_newbcast:2 row_mask:0xf bank_mask:0xf// 000000009F68: 0B4D4CFA FF01521A
	v_mul_f32_dpp v167, v26, v167 row_newbcast:3 row_mask:0xf bank_mask:0xf// 000000009F70: 0B4F4EFA FF01531A
	v_mul_f32_dpp v168, v26, v168 row_newbcast:0 row_mask:0xf bank_mask:0xf// 000000009F78: 0B5150FA FF01501A
	v_mul_f32_dpp v169, v26, v169 row_newbcast:1 row_mask:0xf bank_mask:0xf// 000000009F80: 0B5352FA FF01511A
	v_mul_f32_dpp v170, v26, v170 row_newbcast:2 row_mask:0xf bank_mask:0xf// 000000009F88: 0B5554FA FF01521A
	v_mul_f32_dpp v171, v26, v171 row_newbcast:3 row_mask:0xf bank_mask:0xf// 000000009F90: 0B5756FA FF01531A
	v_mul_f32_dpp v172, v26, v172 row_newbcast:0 row_mask:0xf bank_mask:0xf// 000000009F98: 0B5958FA FF01501A
	v_mul_f32_dpp v173, v26, v173 row_newbcast:1 row_mask:0xf bank_mask:0xf// 000000009FA0: 0B5B5AFA FF01511A
	v_mul_f32_dpp v174, v26, v174 row_newbcast:2 row_mask:0xf bank_mask:0xf// 000000009FA8: 0B5D5CFA FF01521A
	v_mul_f32_dpp v175, v26, v175 row_newbcast:3 row_mask:0xf bank_mask:0xf// 000000009FB0: 0B5F5EFA FF01531A
	v_mul_f32_dpp v176, v26, v176 row_newbcast:4 row_mask:0xf bank_mask:0xf// 000000009FB8: 0B6160FA FF01541A
	v_mul_f32_dpp v177, v26, v177 row_newbcast:5 row_mask:0xf bank_mask:0xf// 000000009FC0: 0B6362FA FF01551A
	v_mul_f32_dpp v178, v26, v178 row_newbcast:6 row_mask:0xf bank_mask:0xf// 000000009FC8: 0B6564FA FF01561A
	v_mul_f32_dpp v179, v26, v179 row_newbcast:7 row_mask:0xf bank_mask:0xf// 000000009FD0: 0B6766FA FF01571A
	v_mul_f32_dpp v180, v26, v180 row_newbcast:4 row_mask:0xf bank_mask:0xf// 000000009FD8: 0B6968FA FF01541A
	v_mul_f32_dpp v181, v26, v181 row_newbcast:5 row_mask:0xf bank_mask:0xf// 000000009FE0: 0B6B6AFA FF01551A
	v_mul_f32_dpp v182, v26, v182 row_newbcast:6 row_mask:0xf bank_mask:0xf// 000000009FE8: 0B6D6CFA FF01561A
	v_mul_f32_dpp v183, v26, v183 row_newbcast:7 row_mask:0xf bank_mask:0xf// 000000009FF0: 0B6F6EFA FF01571A
	v_mul_f32_dpp v184, v26, v184 row_newbcast:4 row_mask:0xf bank_mask:0xf// 000000009FF8: 0B7170FA FF01541A
	v_mul_f32_dpp v185, v26, v185 row_newbcast:5 row_mask:0xf bank_mask:0xf// 00000000A000: 0B7372FA FF01551A
	v_mul_f32_dpp v186, v26, v186 row_newbcast:6 row_mask:0xf bank_mask:0xf// 00000000A008: 0B7574FA FF01561A
	v_mul_f32_dpp v187, v26, v187 row_newbcast:7 row_mask:0xf bank_mask:0xf// 00000000A010: 0B7776FA FF01571A
	v_mul_f32_dpp v188, v26, v188 row_newbcast:4 row_mask:0xf bank_mask:0xf// 00000000A018: 0B7978FA FF01541A
	v_mul_f32_dpp v189, v26, v189 row_newbcast:5 row_mask:0xf bank_mask:0xf// 00000000A020: 0B7B7AFA FF01551A
	v_mul_f32_dpp v190, v26, v190 row_newbcast:6 row_mask:0xf bank_mask:0xf// 00000000A028: 0B7D7CFA FF01561A
	v_mul_f32_dpp v191, v26, v191 row_newbcast:7 row_mask:0xf bank_mask:0xf// 00000000A030: 0B7F7EFA FF01571A
	v_mul_f32_dpp v192, v26, v192 row_newbcast:4 row_mask:0xf bank_mask:0xf// 00000000A038: 0B8180FA FF01541A
	v_mul_f32_dpp v193, v26, v193 row_newbcast:5 row_mask:0xf bank_mask:0xf// 00000000A040: 0B8382FA FF01551A
	v_mul_f32_dpp v194, v26, v194 row_newbcast:6 row_mask:0xf bank_mask:0xf// 00000000A048: 0B8584FA FF01561A
	v_mul_f32_dpp v195, v26, v195 row_newbcast:7 row_mask:0xf bank_mask:0xf// 00000000A050: 0B8786FA FF01571A
	v_mul_f32_dpp v196, v26, v196 row_newbcast:4 row_mask:0xf bank_mask:0xf// 00000000A058: 0B8988FA FF01541A
	v_mul_f32_dpp v197, v26, v197 row_newbcast:5 row_mask:0xf bank_mask:0xf// 00000000A060: 0B8B8AFA FF01551A
	v_mul_f32_dpp v198, v26, v198 row_newbcast:6 row_mask:0xf bank_mask:0xf// 00000000A068: 0B8D8CFA FF01561A
	v_mul_f32_dpp v199, v26, v199 row_newbcast:7 row_mask:0xf bank_mask:0xf// 00000000A070: 0B8F8EFA FF01571A
	v_mul_f32_dpp v200, v26, v200 row_newbcast:4 row_mask:0xf bank_mask:0xf// 00000000A078: 0B9190FA FF01541A
	v_mul_f32_dpp v201, v26, v201 row_newbcast:5 row_mask:0xf bank_mask:0xf// 00000000A080: 0B9392FA FF01551A
	v_mul_f32_dpp v202, v26, v202 row_newbcast:6 row_mask:0xf bank_mask:0xf// 00000000A088: 0B9594FA FF01561A
	v_mul_f32_dpp v203, v26, v203 row_newbcast:7 row_mask:0xf bank_mask:0xf// 00000000A090: 0B9796FA FF01571A
	v_mul_f32_dpp v204, v26, v204 row_newbcast:4 row_mask:0xf bank_mask:0xf// 00000000A098: 0B9998FA FF01541A
	v_mul_f32_dpp v205, v26, v205 row_newbcast:5 row_mask:0xf bank_mask:0xf// 00000000A0A0: 0B9B9AFA FF01551A
	v_mul_f32_dpp v206, v26, v206 row_newbcast:6 row_mask:0xf bank_mask:0xf// 00000000A0A8: 0B9D9CFA FF01561A
	v_mul_f32_dpp v207, v26, v207 row_newbcast:7 row_mask:0xf bank_mask:0xf// 00000000A0B0: 0B9F9EFA FF01571A
	v_mov_b32_e32 v4, v36                                      // 00000000A0B8: 7E080324
	v_mov_b32_e32 v5, v4                                       // 00000000A0BC: 7E0A0304
	v_pk_mul_f32 v[80:81], v[4:5], v[80:81]                    // 00000000A0C0: D3B14050 1802A104
	v_pk_mul_f32 v[144:145], v[4:5], v[144:145]                // 00000000A0C8: D3B14090 18032104
	v_pk_mul_f32 v[82:83], v[4:5], v[82:83]                    // 00000000A0D0: D3B14052 1802A504
	v_pk_mul_f32 v[146:147], v[4:5], v[146:147]                // 00000000A0D8: D3B14092 18032504
	v_pk_mul_f32 v[112:113], v[4:5], v[112:113]                // 00000000A0E0: D3B14070 1802E104
	v_pk_mul_f32 v[176:177], v[4:5], v[176:177]                // 00000000A0E8: D3B140B0 18036104
	v_pk_mul_f32 v[114:115], v[4:5], v[114:115]                // 00000000A0F0: D3B14072 1802E504
	v_pk_mul_f32 v[178:179], v[4:5], v[178:179]                // 00000000A0F8: D3B140B2 18036504
	v_mov_b32_e32 v4, v37                                      // 00000000A100: 7E080325
	v_mov_b32_e32 v5, v4                                       // 00000000A104: 7E0A0304
	v_pk_mul_f32 v[84:85], v[4:5], v[84:85]                    // 00000000A108: D3B14054 1802A904
	v_pk_mul_f32 v[148:149], v[4:5], v[148:149]                // 00000000A110: D3B14094 18032904
	v_pk_mul_f32 v[86:87], v[4:5], v[86:87]                    // 00000000A118: D3B14056 1802AD04
	v_pk_mul_f32 v[150:151], v[4:5], v[150:151]                // 00000000A120: D3B14096 18032D04
	v_pk_mul_f32 v[116:117], v[4:5], v[116:117]                // 00000000A128: D3B14074 1802E904
	v_pk_mul_f32 v[180:181], v[4:5], v[180:181]                // 00000000A130: D3B140B4 18036904
	v_pk_mul_f32 v[118:119], v[4:5], v[118:119]                // 00000000A138: D3B14076 1802ED04
	v_pk_mul_f32 v[182:183], v[4:5], v[182:183]                // 00000000A140: D3B140B6 18036D04
	v_mov_b32_e32 v4, v38                                      // 00000000A148: 7E080326
	v_mov_b32_e32 v5, v4                                       // 00000000A14C: 7E0A0304
	v_pk_mul_f32 v[88:89], v[4:5], v[88:89]                    // 00000000A150: D3B14058 1802B104
	v_pk_mul_f32 v[152:153], v[4:5], v[152:153]                // 00000000A158: D3B14098 18033104
	v_pk_mul_f32 v[90:91], v[4:5], v[90:91]                    // 00000000A160: D3B1405A 1802B504
	v_pk_mul_f32 v[154:155], v[4:5], v[154:155]                // 00000000A168: D3B1409A 18033504
	v_pk_mul_f32 v[120:121], v[4:5], v[120:121]                // 00000000A170: D3B14078 1802F104
	v_pk_mul_f32 v[184:185], v[4:5], v[184:185]                // 00000000A178: D3B140B8 18037104
	v_pk_mul_f32 v[122:123], v[4:5], v[122:123]                // 00000000A180: D3B1407A 1802F504
	v_pk_mul_f32 v[186:187], v[4:5], v[186:187]                // 00000000A188: D3B140BA 18037504
	v_mov_b32_e32 v4, v39                                      // 00000000A190: 7E080327
	v_mov_b32_e32 v5, v4                                       // 00000000A194: 7E0A0304
	v_pk_mul_f32 v[92:93], v[4:5], v[92:93]                    // 00000000A198: D3B1405C 1802B904
	v_pk_mul_f32 v[156:157], v[4:5], v[156:157]                // 00000000A1A0: D3B1409C 18033904
	v_pk_mul_f32 v[94:95], v[4:5], v[94:95]                    // 00000000A1A8: D3B1405E 1802BD04
	v_pk_mul_f32 v[158:159], v[4:5], v[158:159]                // 00000000A1B0: D3B1409E 18033D04
	v_pk_mul_f32 v[124:125], v[4:5], v[124:125]                // 00000000A1B8: D3B1407C 1802F904
	v_pk_mul_f32 v[188:189], v[4:5], v[188:189]                // 00000000A1C0: D3B140BC 18037904
	v_pk_mul_f32 v[126:127], v[4:5], v[126:127]                // 00000000A1C8: D3B1407E 1802FD04
	v_pk_mul_f32 v[190:191], v[4:5], v[190:191]                // 00000000A1D0: D3B140BE 18037D04
	v_mov_b32_e32 v4, v40                                      // 00000000A1D8: 7E080328
	v_mov_b32_e32 v5, v4                                       // 00000000A1DC: 7E0A0304
	v_pk_mul_f32 v[96:97], v[4:5], v[96:97]                    // 00000000A1E0: D3B14060 1802C104
	v_pk_mul_f32 v[160:161], v[4:5], v[160:161]                // 00000000A1E8: D3B140A0 18034104
	v_pk_mul_f32 v[98:99], v[4:5], v[98:99]                    // 00000000A1F0: D3B14062 1802C504
	v_pk_mul_f32 v[162:163], v[4:5], v[162:163]                // 00000000A1F8: D3B140A2 18034504
	v_pk_mul_f32 v[128:129], v[4:5], v[128:129]                // 00000000A200: D3B14080 18030104
	v_pk_mul_f32 v[192:193], v[4:5], v[192:193]                // 00000000A208: D3B140C0 18038104
	v_pk_mul_f32 v[130:131], v[4:5], v[130:131]                // 00000000A210: D3B14082 18030504
	v_pk_mul_f32 v[194:195], v[4:5], v[194:195]                // 00000000A218: D3B140C2 18038504
	v_mov_b32_e32 v4, v41                                      // 00000000A220: 7E080329
	v_mov_b32_e32 v5, v4                                       // 00000000A224: 7E0A0304
	v_pk_mul_f32 v[100:101], v[4:5], v[100:101]                // 00000000A228: D3B14064 1802C904
	v_pk_mul_f32 v[164:165], v[4:5], v[164:165]                // 00000000A230: D3B140A4 18034904
	v_pk_mul_f32 v[102:103], v[4:5], v[102:103]                // 00000000A238: D3B14066 1802CD04
	v_pk_mul_f32 v[166:167], v[4:5], v[166:167]                // 00000000A240: D3B140A6 18034D04
	v_pk_mul_f32 v[132:133], v[4:5], v[132:133]                // 00000000A248: D3B14084 18030904
	v_pk_mul_f32 v[196:197], v[4:5], v[196:197]                // 00000000A250: D3B140C4 18038904
	v_pk_mul_f32 v[134:135], v[4:5], v[134:135]                // 00000000A258: D3B14086 18030D04
	v_pk_mul_f32 v[198:199], v[4:5], v[198:199]                // 00000000A260: D3B140C6 18038D04
	v_mov_b32_e32 v4, v42                                      // 00000000A268: 7E08032A
	v_mov_b32_e32 v5, v4                                       // 00000000A26C: 7E0A0304
	v_pk_mul_f32 v[104:105], v[4:5], v[104:105]                // 00000000A270: D3B14068 1802D104
	v_pk_mul_f32 v[168:169], v[4:5], v[168:169]                // 00000000A278: D3B140A8 18035104
	v_pk_mul_f32 v[106:107], v[4:5], v[106:107]                // 00000000A280: D3B1406A 1802D504
	v_pk_mul_f32 v[170:171], v[4:5], v[170:171]                // 00000000A288: D3B140AA 18035504
	v_pk_mul_f32 v[136:137], v[4:5], v[136:137]                // 00000000A290: D3B14088 18031104
	v_pk_mul_f32 v[200:201], v[4:5], v[200:201]                // 00000000A298: D3B140C8 18039104
	v_pk_mul_f32 v[138:139], v[4:5], v[138:139]                // 00000000A2A0: D3B1408A 18031504
	v_pk_mul_f32 v[202:203], v[4:5], v[202:203]                // 00000000A2A8: D3B140CA 18039504
	v_mov_b32_e32 v4, v43                                      // 00000000A2B0: 7E08032B
	v_mov_b32_e32 v5, v4                                       // 00000000A2B4: 7E0A0304
	v_pk_mul_f32 v[108:109], v[4:5], v[108:109]                // 00000000A2B8: D3B1406C 1802D904
	v_pk_mul_f32 v[172:173], v[4:5], v[172:173]                // 00000000A2C0: D3B140AC 18035904
	v_pk_mul_f32 v[110:111], v[4:5], v[110:111]                // 00000000A2C8: D3B1406E 1802DD04
	v_pk_mul_f32 v[174:175], v[4:5], v[174:175]                // 00000000A2D0: D3B140AE 18035D04
	v_pk_mul_f32 v[140:141], v[4:5], v[140:141]                // 00000000A2D8: D3B1408C 18031904
	v_pk_mul_f32 v[204:205], v[4:5], v[204:205]                // 00000000A2E0: D3B140CC 18039904
	v_pk_mul_f32 v[142:143], v[4:5], v[142:143]                // 00000000A2E8: D3B1408E 18031D04
	v_pk_mul_f32 v[206:207], v[4:5], v[206:207]                // 00000000A2F0: D3B140CE 18039D04
	s_cmp_eq_u32 s88, 0                                        // 00000000A2F8: BF068058
	s_cbranch_scc0 label_27A4                                  // 00000000A2FC: BF840961
	s_cmp_eq_u32 s89, 0                                        // 00000000A300: BF068059
	s_cbranch_scc1 label_20CA                                  // 00000000A304: BF850285
	v_mov_b32_e32 v8, v1                                       // 00000000A308: 7E100301
	v_mov_b32_e32 v9, v1                                       // 00000000A30C: 7E120301
	s_mov_b32 s60, s6                                          // 00000000A310: BEBC0006
	s_mov_b32 s61, s6                                          // 00000000A314: BEBD0006
	v_pk_mul_f32 v[4:5], v[80:81], v[80:81]                    // 00000000A318: D3B14004 1802A150
	v_pk_mul_f32 v[6:7], v[82:83], v[82:83]                    // 00000000A320: D3B14006 1802A552
	v_pk_fma_f32 v[4:5], v[4:5], s[78:79], v[8:9]              // 00000000A328: D3B04004 1C209D04
	v_pk_fma_f32 v[6:7], v[6:7], s[78:79], v[8:9]              // 00000000A330: D3B04006 1C209D06
	v_pk_mul_f32 v[4:5], v[4:5], v[80:81]                      // 00000000A338: D3B14004 1802A104
	v_pk_mul_f32 v[6:7], v[6:7], v[82:83]                      // 00000000A340: D3B14006 1802A506
	v_pk_mul_f32 v[4:5], v[4:5], s[60:61]                      // 00000000A348: D3B14004 18007904
	v_pk_mul_f32 v[6:7], v[6:7], s[60:61]                      // 00000000A350: D3B14006 18007906
	v_exp_f32_e32 v4, v4                                       // 00000000A358: 7E084104
	v_exp_f32_e32 v5, v5                                       // 00000000A35C: 7E0A4105
	v_exp_f32_e32 v6, v6                                       // 00000000A360: 7E0C4106
	v_exp_f32_e32 v7, v7                                       // 00000000A364: 7E0E4107
	v_add_f32_e64 v4, v4, 1.0                                  // 00000000A368: D1010004 0001E504
	v_add_f32_e64 v5, v5, 1.0                                  // 00000000A370: D1010005 0001E505
	v_add_f32_e64 v6, v6, 1.0                                  // 00000000A378: D1010006 0001E506
	v_add_f32_e64 v7, v7, 1.0                                  // 00000000A380: D1010007 0001E507
	v_rcp_f32_e32 v4, v4                                       // 00000000A388: 7E084504
	v_rcp_f32_e32 v5, v5                                       // 00000000A38C: 7E0A4505
	v_rcp_f32_e32 v6, v6                                       // 00000000A390: 7E0C4506
	v_rcp_f32_e32 v7, v7                                       // 00000000A394: 7E0E4507
	v_mul_f32_e32 v80, v80, v4                                 // 00000000A398: 0AA00950
	v_mul_f32_e32 v81, v81, v5                                 // 00000000A39C: 0AA20B51
	v_mul_f32_e32 v82, v82, v6                                 // 00000000A3A0: 0AA40D52
	v_mul_f32_e32 v83, v83, v7                                 // 00000000A3A4: 0AA60F53
	v_mul_f32_e32 v80, v80, v144                               // 00000000A3A8: 0AA12150
	v_mul_f32_e32 v81, v81, v145                               // 00000000A3AC: 0AA32351
	v_mul_f32_e32 v82, v82, v146                               // 00000000A3B0: 0AA52552
	v_mul_f32_e32 v83, v83, v147                               // 00000000A3B4: 0AA72753
	v_pk_mul_f32 v[4:5], v[84:85], v[84:85]                    // 00000000A3B8: D3B14004 1802A954
	v_pk_mul_f32 v[6:7], v[86:87], v[86:87]                    // 00000000A3C0: D3B14006 1802AD56
	v_pk_fma_f32 v[4:5], v[4:5], s[78:79], v[8:9]              // 00000000A3C8: D3B04004 1C209D04
	v_pk_fma_f32 v[6:7], v[6:7], s[78:79], v[8:9]              // 00000000A3D0: D3B04006 1C209D06
	v_pk_mul_f32 v[4:5], v[4:5], v[84:85]                      // 00000000A3D8: D3B14004 1802A904
	v_pk_mul_f32 v[6:7], v[6:7], v[86:87]                      // 00000000A3E0: D3B14006 1802AD06
	v_pk_mul_f32 v[4:5], v[4:5], s[60:61]                      // 00000000A3E8: D3B14004 18007904
	v_pk_mul_f32 v[6:7], v[6:7], s[60:61]                      // 00000000A3F0: D3B14006 18007906
	v_exp_f32_e32 v4, v4                                       // 00000000A3F8: 7E084104
	v_exp_f32_e32 v5, v5                                       // 00000000A3FC: 7E0A4105
	v_exp_f32_e32 v6, v6                                       // 00000000A400: 7E0C4106
	v_exp_f32_e32 v7, v7                                       // 00000000A404: 7E0E4107
	v_add_f32_e64 v4, v4, 1.0                                  // 00000000A408: D1010004 0001E504
	v_add_f32_e64 v5, v5, 1.0                                  // 00000000A410: D1010005 0001E505
	v_add_f32_e64 v6, v6, 1.0                                  // 00000000A418: D1010006 0001E506
	v_add_f32_e64 v7, v7, 1.0                                  // 00000000A420: D1010007 0001E507
	v_rcp_f32_e32 v4, v4                                       // 00000000A428: 7E084504
	v_rcp_f32_e32 v5, v5                                       // 00000000A42C: 7E0A4505
	v_rcp_f32_e32 v6, v6                                       // 00000000A430: 7E0C4506
	v_rcp_f32_e32 v7, v7                                       // 00000000A434: 7E0E4507
	v_mul_f32_e32 v84, v84, v4                                 // 00000000A438: 0AA80954
	v_mul_f32_e32 v85, v85, v5                                 // 00000000A43C: 0AAA0B55
	v_mul_f32_e32 v86, v86, v6                                 // 00000000A440: 0AAC0D56
	v_mul_f32_e32 v87, v87, v7                                 // 00000000A444: 0AAE0F57
	v_mul_f32_e32 v84, v84, v148                               // 00000000A448: 0AA92954
	v_mul_f32_e32 v85, v85, v149                               // 00000000A44C: 0AAB2B55
	v_mul_f32_e32 v86, v86, v150                               // 00000000A450: 0AAD2D56
	v_mul_f32_e32 v87, v87, v151                               // 00000000A454: 0AAF2F57
	v_pk_mul_f32 v[4:5], v[88:89], v[88:89]                    // 00000000A458: D3B14004 1802B158
	v_pk_mul_f32 v[6:7], v[90:91], v[90:91]                    // 00000000A460: D3B14006 1802B55A
	v_pk_fma_f32 v[4:5], v[4:5], s[78:79], v[8:9]              // 00000000A468: D3B04004 1C209D04
	v_pk_fma_f32 v[6:7], v[6:7], s[78:79], v[8:9]              // 00000000A470: D3B04006 1C209D06
	v_pk_mul_f32 v[4:5], v[4:5], v[88:89]                      // 00000000A478: D3B14004 1802B104
	v_pk_mul_f32 v[6:7], v[6:7], v[90:91]                      // 00000000A480: D3B14006 1802B506
	v_pk_mul_f32 v[4:5], v[4:5], s[60:61]                      // 00000000A488: D3B14004 18007904
	v_pk_mul_f32 v[6:7], v[6:7], s[60:61]                      // 00000000A490: D3B14006 18007906
	v_exp_f32_e32 v4, v4                                       // 00000000A498: 7E084104
	v_exp_f32_e32 v5, v5                                       // 00000000A49C: 7E0A4105
	v_exp_f32_e32 v6, v6                                       // 00000000A4A0: 7E0C4106
	v_exp_f32_e32 v7, v7                                       // 00000000A4A4: 7E0E4107
	v_add_f32_e64 v4, v4, 1.0                                  // 00000000A4A8: D1010004 0001E504
	v_add_f32_e64 v5, v5, 1.0                                  // 00000000A4B0: D1010005 0001E505
	v_add_f32_e64 v6, v6, 1.0                                  // 00000000A4B8: D1010006 0001E506
	v_add_f32_e64 v7, v7, 1.0                                  // 00000000A4C0: D1010007 0001E507
	v_rcp_f32_e32 v4, v4                                       // 00000000A4C8: 7E084504
	v_rcp_f32_e32 v5, v5                                       // 00000000A4CC: 7E0A4505
	v_rcp_f32_e32 v6, v6                                       // 00000000A4D0: 7E0C4506
	v_rcp_f32_e32 v7, v7                                       // 00000000A4D4: 7E0E4507
	v_mul_f32_e32 v88, v88, v4                                 // 00000000A4D8: 0AB00958
	v_mul_f32_e32 v89, v89, v5                                 // 00000000A4DC: 0AB20B59
	v_mul_f32_e32 v90, v90, v6                                 // 00000000A4E0: 0AB40D5A
	v_mul_f32_e32 v91, v91, v7                                 // 00000000A4E4: 0AB60F5B
	v_mul_f32_e32 v88, v88, v152                               // 00000000A4E8: 0AB13158
	v_mul_f32_e32 v89, v89, v153                               // 00000000A4EC: 0AB33359
	v_mul_f32_e32 v90, v90, v154                               // 00000000A4F0: 0AB5355A
	v_mul_f32_e32 v91, v91, v155                               // 00000000A4F4: 0AB7375B
	v_pk_mul_f32 v[4:5], v[92:93], v[92:93]                    // 00000000A4F8: D3B14004 1802B95C
	v_pk_mul_f32 v[6:7], v[94:95], v[94:95]                    // 00000000A500: D3B14006 1802BD5E
	v_pk_fma_f32 v[4:5], v[4:5], s[78:79], v[8:9]              // 00000000A508: D3B04004 1C209D04
	v_pk_fma_f32 v[6:7], v[6:7], s[78:79], v[8:9]              // 00000000A510: D3B04006 1C209D06
	v_pk_mul_f32 v[4:5], v[4:5], v[92:93]                      // 00000000A518: D3B14004 1802B904
	v_pk_mul_f32 v[6:7], v[6:7], v[94:95]                      // 00000000A520: D3B14006 1802BD06
	v_pk_mul_f32 v[4:5], v[4:5], s[60:61]                      // 00000000A528: D3B14004 18007904
	v_pk_mul_f32 v[6:7], v[6:7], s[60:61]                      // 00000000A530: D3B14006 18007906
	v_exp_f32_e32 v4, v4                                       // 00000000A538: 7E084104
	v_exp_f32_e32 v5, v5                                       // 00000000A53C: 7E0A4105
	v_exp_f32_e32 v6, v6                                       // 00000000A540: 7E0C4106
	v_exp_f32_e32 v7, v7                                       // 00000000A544: 7E0E4107
	v_add_f32_e64 v4, v4, 1.0                                  // 00000000A548: D1010004 0001E504
	v_add_f32_e64 v5, v5, 1.0                                  // 00000000A550: D1010005 0001E505
	v_add_f32_e64 v6, v6, 1.0                                  // 00000000A558: D1010006 0001E506
	v_add_f32_e64 v7, v7, 1.0                                  // 00000000A560: D1010007 0001E507
	v_rcp_f32_e32 v4, v4                                       // 00000000A568: 7E084504
	v_rcp_f32_e32 v5, v5                                       // 00000000A56C: 7E0A4505
	v_rcp_f32_e32 v6, v6                                       // 00000000A570: 7E0C4506
	v_rcp_f32_e32 v7, v7                                       // 00000000A574: 7E0E4507
	v_mul_f32_e32 v92, v92, v4                                 // 00000000A578: 0AB8095C
	v_mul_f32_e32 v93, v93, v5                                 // 00000000A57C: 0ABA0B5D
	v_mul_f32_e32 v94, v94, v6                                 // 00000000A580: 0ABC0D5E
	v_mul_f32_e32 v95, v95, v7                                 // 00000000A584: 0ABE0F5F
	v_mul_f32_e32 v92, v92, v156                               // 00000000A588: 0AB9395C
	v_mul_f32_e32 v93, v93, v157                               // 00000000A58C: 0ABB3B5D
	v_mul_f32_e32 v94, v94, v158                               // 00000000A590: 0ABD3D5E
	v_mul_f32_e32 v95, v95, v159                               // 00000000A594: 0ABF3F5F
	v_pk_mul_f32 v[4:5], v[96:97], v[96:97]                    // 00000000A598: D3B14004 1802C160
	v_pk_mul_f32 v[6:7], v[98:99], v[98:99]                    // 00000000A5A0: D3B14006 1802C562
	v_pk_fma_f32 v[4:5], v[4:5], s[78:79], v[8:9]              // 00000000A5A8: D3B04004 1C209D04
	v_pk_fma_f32 v[6:7], v[6:7], s[78:79], v[8:9]              // 00000000A5B0: D3B04006 1C209D06
	v_pk_mul_f32 v[4:5], v[4:5], v[96:97]                      // 00000000A5B8: D3B14004 1802C104
	v_pk_mul_f32 v[6:7], v[6:7], v[98:99]                      // 00000000A5C0: D3B14006 1802C506
	v_pk_mul_f32 v[4:5], v[4:5], s[60:61]                      // 00000000A5C8: D3B14004 18007904
	v_pk_mul_f32 v[6:7], v[6:7], s[60:61]                      // 00000000A5D0: D3B14006 18007906
	v_exp_f32_e32 v4, v4                                       // 00000000A5D8: 7E084104
	v_exp_f32_e32 v5, v5                                       // 00000000A5DC: 7E0A4105
	v_exp_f32_e32 v6, v6                                       // 00000000A5E0: 7E0C4106
	v_exp_f32_e32 v7, v7                                       // 00000000A5E4: 7E0E4107
	v_add_f32_e64 v4, v4, 1.0                                  // 00000000A5E8: D1010004 0001E504
	v_add_f32_e64 v5, v5, 1.0                                  // 00000000A5F0: D1010005 0001E505
	v_add_f32_e64 v6, v6, 1.0                                  // 00000000A5F8: D1010006 0001E506
	v_add_f32_e64 v7, v7, 1.0                                  // 00000000A600: D1010007 0001E507
	v_rcp_f32_e32 v4, v4                                       // 00000000A608: 7E084504
	v_rcp_f32_e32 v5, v5                                       // 00000000A60C: 7E0A4505
	v_rcp_f32_e32 v6, v6                                       // 00000000A610: 7E0C4506
	v_rcp_f32_e32 v7, v7                                       // 00000000A614: 7E0E4507
	v_mul_f32_e32 v96, v96, v4                                 // 00000000A618: 0AC00960
	v_mul_f32_e32 v97, v97, v5                                 // 00000000A61C: 0AC20B61
	v_mul_f32_e32 v98, v98, v6                                 // 00000000A620: 0AC40D62
	v_mul_f32_e32 v99, v99, v7                                 // 00000000A624: 0AC60F63
	v_mul_f32_e32 v96, v96, v160                               // 00000000A628: 0AC14160
	v_mul_f32_e32 v97, v97, v161                               // 00000000A62C: 0AC34361
	v_mul_f32_e32 v98, v98, v162                               // 00000000A630: 0AC54562
	v_mul_f32_e32 v99, v99, v163                               // 00000000A634: 0AC74763
	v_pk_mul_f32 v[4:5], v[100:101], v[100:101]                // 00000000A638: D3B14004 1802C964
	v_pk_mul_f32 v[6:7], v[102:103], v[102:103]                // 00000000A640: D3B14006 1802CD66
	v_pk_fma_f32 v[4:5], v[4:5], s[78:79], v[8:9]              // 00000000A648: D3B04004 1C209D04
	v_pk_fma_f32 v[6:7], v[6:7], s[78:79], v[8:9]              // 00000000A650: D3B04006 1C209D06
	v_pk_mul_f32 v[4:5], v[4:5], v[100:101]                    // 00000000A658: D3B14004 1802C904
	v_pk_mul_f32 v[6:7], v[6:7], v[102:103]                    // 00000000A660: D3B14006 1802CD06
	v_pk_mul_f32 v[4:5], v[4:5], s[60:61]                      // 00000000A668: D3B14004 18007904
	v_pk_mul_f32 v[6:7], v[6:7], s[60:61]                      // 00000000A670: D3B14006 18007906
	v_exp_f32_e32 v4, v4                                       // 00000000A678: 7E084104
	v_exp_f32_e32 v5, v5                                       // 00000000A67C: 7E0A4105
	v_exp_f32_e32 v6, v6                                       // 00000000A680: 7E0C4106
	v_exp_f32_e32 v7, v7                                       // 00000000A684: 7E0E4107
	v_add_f32_e64 v4, v4, 1.0                                  // 00000000A688: D1010004 0001E504
	v_add_f32_e64 v5, v5, 1.0                                  // 00000000A690: D1010005 0001E505
	v_add_f32_e64 v6, v6, 1.0                                  // 00000000A698: D1010006 0001E506
	v_add_f32_e64 v7, v7, 1.0                                  // 00000000A6A0: D1010007 0001E507
	v_rcp_f32_e32 v4, v4                                       // 00000000A6A8: 7E084504
	v_rcp_f32_e32 v5, v5                                       // 00000000A6AC: 7E0A4505
	v_rcp_f32_e32 v6, v6                                       // 00000000A6B0: 7E0C4506
	v_rcp_f32_e32 v7, v7                                       // 00000000A6B4: 7E0E4507
	v_mul_f32_e32 v100, v100, v4                               // 00000000A6B8: 0AC80964
	v_mul_f32_e32 v101, v101, v5                               // 00000000A6BC: 0ACA0B65
	v_mul_f32_e32 v102, v102, v6                               // 00000000A6C0: 0ACC0D66
	v_mul_f32_e32 v103, v103, v7                               // 00000000A6C4: 0ACE0F67
	v_mul_f32_e32 v100, v100, v164                             // 00000000A6C8: 0AC94964
	v_mul_f32_e32 v101, v101, v165                             // 00000000A6CC: 0ACB4B65
	v_mul_f32_e32 v102, v102, v166                             // 00000000A6D0: 0ACD4D66
	v_mul_f32_e32 v103, v103, v167                             // 00000000A6D4: 0ACF4F67
	v_pk_mul_f32 v[4:5], v[104:105], v[104:105]                // 00000000A6D8: D3B14004 1802D168
	v_pk_mul_f32 v[6:7], v[106:107], v[106:107]                // 00000000A6E0: D3B14006 1802D56A
	v_pk_fma_f32 v[4:5], v[4:5], s[78:79], v[8:9]              // 00000000A6E8: D3B04004 1C209D04
	v_pk_fma_f32 v[6:7], v[6:7], s[78:79], v[8:9]              // 00000000A6F0: D3B04006 1C209D06
	v_pk_mul_f32 v[4:5], v[4:5], v[104:105]                    // 00000000A6F8: D3B14004 1802D104
	v_pk_mul_f32 v[6:7], v[6:7], v[106:107]                    // 00000000A700: D3B14006 1802D506
	v_pk_mul_f32 v[4:5], v[4:5], s[60:61]                      // 00000000A708: D3B14004 18007904
	v_pk_mul_f32 v[6:7], v[6:7], s[60:61]                      // 00000000A710: D3B14006 18007906
	v_exp_f32_e32 v4, v4                                       // 00000000A718: 7E084104
	v_exp_f32_e32 v5, v5                                       // 00000000A71C: 7E0A4105
	v_exp_f32_e32 v6, v6                                       // 00000000A720: 7E0C4106
	v_exp_f32_e32 v7, v7                                       // 00000000A724: 7E0E4107
	v_add_f32_e64 v4, v4, 1.0                                  // 00000000A728: D1010004 0001E504
	v_add_f32_e64 v5, v5, 1.0                                  // 00000000A730: D1010005 0001E505
	v_add_f32_e64 v6, v6, 1.0                                  // 00000000A738: D1010006 0001E506
	v_add_f32_e64 v7, v7, 1.0                                  // 00000000A740: D1010007 0001E507
	v_rcp_f32_e32 v4, v4                                       // 00000000A748: 7E084504
	v_rcp_f32_e32 v5, v5                                       // 00000000A74C: 7E0A4505
	v_rcp_f32_e32 v6, v6                                       // 00000000A750: 7E0C4506
	v_rcp_f32_e32 v7, v7                                       // 00000000A754: 7E0E4507
	v_mul_f32_e32 v104, v104, v4                               // 00000000A758: 0AD00968
	v_mul_f32_e32 v105, v105, v5                               // 00000000A75C: 0AD20B69
	v_mul_f32_e32 v106, v106, v6                               // 00000000A760: 0AD40D6A
	v_mul_f32_e32 v107, v107, v7                               // 00000000A764: 0AD60F6B
	v_mul_f32_e32 v104, v104, v168                             // 00000000A768: 0AD15168
	v_mul_f32_e32 v105, v105, v169                             // 00000000A76C: 0AD35369
	v_mul_f32_e32 v106, v106, v170                             // 00000000A770: 0AD5556A
	v_mul_f32_e32 v107, v107, v171                             // 00000000A774: 0AD7576B
	v_pk_mul_f32 v[4:5], v[108:109], v[108:109]                // 00000000A778: D3B14004 1802D96C
	v_pk_mul_f32 v[6:7], v[110:111], v[110:111]                // 00000000A780: D3B14006 1802DD6E
	v_pk_fma_f32 v[4:5], v[4:5], s[78:79], v[8:9]              // 00000000A788: D3B04004 1C209D04
	v_pk_fma_f32 v[6:7], v[6:7], s[78:79], v[8:9]              // 00000000A790: D3B04006 1C209D06
	v_pk_mul_f32 v[4:5], v[4:5], v[108:109]                    // 00000000A798: D3B14004 1802D904
	v_pk_mul_f32 v[6:7], v[6:7], v[110:111]                    // 00000000A7A0: D3B14006 1802DD06
	v_pk_mul_f32 v[4:5], v[4:5], s[60:61]                      // 00000000A7A8: D3B14004 18007904
	v_pk_mul_f32 v[6:7], v[6:7], s[60:61]                      // 00000000A7B0: D3B14006 18007906
	v_exp_f32_e32 v4, v4                                       // 00000000A7B8: 7E084104
	v_exp_f32_e32 v5, v5                                       // 00000000A7BC: 7E0A4105
	v_exp_f32_e32 v6, v6                                       // 00000000A7C0: 7E0C4106
	v_exp_f32_e32 v7, v7                                       // 00000000A7C4: 7E0E4107
	v_add_f32_e64 v4, v4, 1.0                                  // 00000000A7C8: D1010004 0001E504
	v_add_f32_e64 v5, v5, 1.0                                  // 00000000A7D0: D1010005 0001E505
	v_add_f32_e64 v6, v6, 1.0                                  // 00000000A7D8: D1010006 0001E506
	v_add_f32_e64 v7, v7, 1.0                                  // 00000000A7E0: D1010007 0001E507
	v_rcp_f32_e32 v4, v4                                       // 00000000A7E8: 7E084504
	v_rcp_f32_e32 v5, v5                                       // 00000000A7EC: 7E0A4505
	v_rcp_f32_e32 v6, v6                                       // 00000000A7F0: 7E0C4506
	v_rcp_f32_e32 v7, v7                                       // 00000000A7F4: 7E0E4507
	v_mul_f32_e32 v108, v108, v4                               // 00000000A7F8: 0AD8096C
	v_mul_f32_e32 v109, v109, v5                               // 00000000A7FC: 0ADA0B6D
	v_mul_f32_e32 v110, v110, v6                               // 00000000A800: 0ADC0D6E
	v_mul_f32_e32 v111, v111, v7                               // 00000000A804: 0ADE0F6F
	v_mul_f32_e32 v108, v108, v172                             // 00000000A808: 0AD9596C
	v_mul_f32_e32 v109, v109, v173                             // 00000000A80C: 0ADB5B6D
	v_mul_f32_e32 v110, v110, v174                             // 00000000A810: 0ADD5D6E
	v_mul_f32_e32 v111, v111, v175                             // 00000000A814: 0ADF5F6F
	v_pk_mul_f32 v[4:5], v[112:113], v[112:113]                // 00000000A818: D3B14004 1802E170
	v_pk_mul_f32 v[6:7], v[114:115], v[114:115]                // 00000000A820: D3B14006 1802E572
	v_pk_fma_f32 v[4:5], v[4:5], s[78:79], v[8:9]              // 00000000A828: D3B04004 1C209D04
	v_pk_fma_f32 v[6:7], v[6:7], s[78:79], v[8:9]              // 00000000A830: D3B04006 1C209D06
	v_pk_mul_f32 v[4:5], v[4:5], v[112:113]                    // 00000000A838: D3B14004 1802E104
	v_pk_mul_f32 v[6:7], v[6:7], v[114:115]                    // 00000000A840: D3B14006 1802E506
	v_pk_mul_f32 v[4:5], v[4:5], s[60:61]                      // 00000000A848: D3B14004 18007904
	v_pk_mul_f32 v[6:7], v[6:7], s[60:61]                      // 00000000A850: D3B14006 18007906
	v_exp_f32_e32 v4, v4                                       // 00000000A858: 7E084104
	v_exp_f32_e32 v5, v5                                       // 00000000A85C: 7E0A4105
	v_exp_f32_e32 v6, v6                                       // 00000000A860: 7E0C4106
	v_exp_f32_e32 v7, v7                                       // 00000000A864: 7E0E4107
	v_add_f32_e64 v4, v4, 1.0                                  // 00000000A868: D1010004 0001E504
	v_add_f32_e64 v5, v5, 1.0                                  // 00000000A870: D1010005 0001E505
	v_add_f32_e64 v6, v6, 1.0                                  // 00000000A878: D1010006 0001E506
	v_add_f32_e64 v7, v7, 1.0                                  // 00000000A880: D1010007 0001E507
	v_rcp_f32_e32 v4, v4                                       // 00000000A888: 7E084504
	v_rcp_f32_e32 v5, v5                                       // 00000000A88C: 7E0A4505
	v_rcp_f32_e32 v6, v6                                       // 00000000A890: 7E0C4506
	v_rcp_f32_e32 v7, v7                                       // 00000000A894: 7E0E4507
	v_mul_f32_e32 v112, v112, v4                               // 00000000A898: 0AE00970
	v_mul_f32_e32 v113, v113, v5                               // 00000000A89C: 0AE20B71
	v_mul_f32_e32 v114, v114, v6                               // 00000000A8A0: 0AE40D72
	v_mul_f32_e32 v115, v115, v7                               // 00000000A8A4: 0AE60F73
	v_mul_f32_e32 v112, v112, v176                             // 00000000A8A8: 0AE16170
	v_mul_f32_e32 v113, v113, v177                             // 00000000A8AC: 0AE36371
	v_mul_f32_e32 v114, v114, v178                             // 00000000A8B0: 0AE56572
	v_mul_f32_e32 v115, v115, v179                             // 00000000A8B4: 0AE76773
	v_pk_mul_f32 v[4:5], v[116:117], v[116:117]                // 00000000A8B8: D3B14004 1802E974
	v_pk_mul_f32 v[6:7], v[118:119], v[118:119]                // 00000000A8C0: D3B14006 1802ED76
	v_pk_fma_f32 v[4:5], v[4:5], s[78:79], v[8:9]              // 00000000A8C8: D3B04004 1C209D04
	v_pk_fma_f32 v[6:7], v[6:7], s[78:79], v[8:9]              // 00000000A8D0: D3B04006 1C209D06
	v_pk_mul_f32 v[4:5], v[4:5], v[116:117]                    // 00000000A8D8: D3B14004 1802E904
	v_pk_mul_f32 v[6:7], v[6:7], v[118:119]                    // 00000000A8E0: D3B14006 1802ED06
	v_pk_mul_f32 v[4:5], v[4:5], s[60:61]                      // 00000000A8E8: D3B14004 18007904
	v_pk_mul_f32 v[6:7], v[6:7], s[60:61]                      // 00000000A8F0: D3B14006 18007906
	v_exp_f32_e32 v4, v4                                       // 00000000A8F8: 7E084104
	v_exp_f32_e32 v5, v5                                       // 00000000A8FC: 7E0A4105
	v_exp_f32_e32 v6, v6                                       // 00000000A900: 7E0C4106
	v_exp_f32_e32 v7, v7                                       // 00000000A904: 7E0E4107
	v_add_f32_e64 v4, v4, 1.0                                  // 00000000A908: D1010004 0001E504
	v_add_f32_e64 v5, v5, 1.0                                  // 00000000A910: D1010005 0001E505
	v_add_f32_e64 v6, v6, 1.0                                  // 00000000A918: D1010006 0001E506
	v_add_f32_e64 v7, v7, 1.0                                  // 00000000A920: D1010007 0001E507
	v_rcp_f32_e32 v4, v4                                       // 00000000A928: 7E084504
	v_rcp_f32_e32 v5, v5                                       // 00000000A92C: 7E0A4505
	v_rcp_f32_e32 v6, v6                                       // 00000000A930: 7E0C4506
	v_rcp_f32_e32 v7, v7                                       // 00000000A934: 7E0E4507
	v_mul_f32_e32 v116, v116, v4                               // 00000000A938: 0AE80974
	v_mul_f32_e32 v117, v117, v5                               // 00000000A93C: 0AEA0B75
	v_mul_f32_e32 v118, v118, v6                               // 00000000A940: 0AEC0D76
	v_mul_f32_e32 v119, v119, v7                               // 00000000A944: 0AEE0F77
	v_mul_f32_e32 v116, v116, v180                             // 00000000A948: 0AE96974
	v_mul_f32_e32 v117, v117, v181                             // 00000000A94C: 0AEB6B75
	v_mul_f32_e32 v118, v118, v182                             // 00000000A950: 0AED6D76
	v_mul_f32_e32 v119, v119, v183                             // 00000000A954: 0AEF6F77
	v_pk_mul_f32 v[4:5], v[120:121], v[120:121]                // 00000000A958: D3B14004 1802F178
	v_pk_mul_f32 v[6:7], v[122:123], v[122:123]                // 00000000A960: D3B14006 1802F57A
	v_pk_fma_f32 v[4:5], v[4:5], s[78:79], v[8:9]              // 00000000A968: D3B04004 1C209D04
	v_pk_fma_f32 v[6:7], v[6:7], s[78:79], v[8:9]              // 00000000A970: D3B04006 1C209D06
	v_pk_mul_f32 v[4:5], v[4:5], v[120:121]                    // 00000000A978: D3B14004 1802F104
	v_pk_mul_f32 v[6:7], v[6:7], v[122:123]                    // 00000000A980: D3B14006 1802F506
	v_pk_mul_f32 v[4:5], v[4:5], s[60:61]                      // 00000000A988: D3B14004 18007904
	v_pk_mul_f32 v[6:7], v[6:7], s[60:61]                      // 00000000A990: D3B14006 18007906
	v_exp_f32_e32 v4, v4                                       // 00000000A998: 7E084104
	v_exp_f32_e32 v5, v5                                       // 00000000A99C: 7E0A4105
	v_exp_f32_e32 v6, v6                                       // 00000000A9A0: 7E0C4106
	v_exp_f32_e32 v7, v7                                       // 00000000A9A4: 7E0E4107
	v_add_f32_e64 v4, v4, 1.0                                  // 00000000A9A8: D1010004 0001E504
	v_add_f32_e64 v5, v5, 1.0                                  // 00000000A9B0: D1010005 0001E505
	v_add_f32_e64 v6, v6, 1.0                                  // 00000000A9B8: D1010006 0001E506
	v_add_f32_e64 v7, v7, 1.0                                  // 00000000A9C0: D1010007 0001E507
	v_rcp_f32_e32 v4, v4                                       // 00000000A9C8: 7E084504
	v_rcp_f32_e32 v5, v5                                       // 00000000A9CC: 7E0A4505
	v_rcp_f32_e32 v6, v6                                       // 00000000A9D0: 7E0C4506
	v_rcp_f32_e32 v7, v7                                       // 00000000A9D4: 7E0E4507
	v_mul_f32_e32 v120, v120, v4                               // 00000000A9D8: 0AF00978
	v_mul_f32_e32 v121, v121, v5                               // 00000000A9DC: 0AF20B79
	v_mul_f32_e32 v122, v122, v6                               // 00000000A9E0: 0AF40D7A
	v_mul_f32_e32 v123, v123, v7                               // 00000000A9E4: 0AF60F7B
	v_mul_f32_e32 v120, v120, v184                             // 00000000A9E8: 0AF17178
	v_mul_f32_e32 v121, v121, v185                             // 00000000A9EC: 0AF37379
	v_mul_f32_e32 v122, v122, v186                             // 00000000A9F0: 0AF5757A
	v_mul_f32_e32 v123, v123, v187                             // 00000000A9F4: 0AF7777B
	v_pk_mul_f32 v[4:5], v[124:125], v[124:125]                // 00000000A9F8: D3B14004 1802F97C
	v_pk_mul_f32 v[6:7], v[126:127], v[126:127]                // 00000000AA00: D3B14006 1802FD7E
	v_pk_fma_f32 v[4:5], v[4:5], s[78:79], v[8:9]              // 00000000AA08: D3B04004 1C209D04
	v_pk_fma_f32 v[6:7], v[6:7], s[78:79], v[8:9]              // 00000000AA10: D3B04006 1C209D06
	v_pk_mul_f32 v[4:5], v[4:5], v[124:125]                    // 00000000AA18: D3B14004 1802F904
	v_pk_mul_f32 v[6:7], v[6:7], v[126:127]                    // 00000000AA20: D3B14006 1802FD06
	v_pk_mul_f32 v[4:5], v[4:5], s[60:61]                      // 00000000AA28: D3B14004 18007904
	v_pk_mul_f32 v[6:7], v[6:7], s[60:61]                      // 00000000AA30: D3B14006 18007906
	v_exp_f32_e32 v4, v4                                       // 00000000AA38: 7E084104
	v_exp_f32_e32 v5, v5                                       // 00000000AA3C: 7E0A4105
	v_exp_f32_e32 v6, v6                                       // 00000000AA40: 7E0C4106
	v_exp_f32_e32 v7, v7                                       // 00000000AA44: 7E0E4107
	v_add_f32_e64 v4, v4, 1.0                                  // 00000000AA48: D1010004 0001E504
	v_add_f32_e64 v5, v5, 1.0                                  // 00000000AA50: D1010005 0001E505
	v_add_f32_e64 v6, v6, 1.0                                  // 00000000AA58: D1010006 0001E506
	v_add_f32_e64 v7, v7, 1.0                                  // 00000000AA60: D1010007 0001E507
	v_rcp_f32_e32 v4, v4                                       // 00000000AA68: 7E084504
	v_rcp_f32_e32 v5, v5                                       // 00000000AA6C: 7E0A4505
	v_rcp_f32_e32 v6, v6                                       // 00000000AA70: 7E0C4506
	v_rcp_f32_e32 v7, v7                                       // 00000000AA74: 7E0E4507
	v_mul_f32_e32 v124, v124, v4                               // 00000000AA78: 0AF8097C
	v_mul_f32_e32 v125, v125, v5                               // 00000000AA7C: 0AFA0B7D
	v_mul_f32_e32 v126, v126, v6                               // 00000000AA80: 0AFC0D7E
	v_mul_f32_e32 v127, v127, v7                               // 00000000AA84: 0AFE0F7F
	v_mul_f32_e32 v124, v124, v188                             // 00000000AA88: 0AF9797C
	v_mul_f32_e32 v125, v125, v189                             // 00000000AA8C: 0AFB7B7D
	v_mul_f32_e32 v126, v126, v190                             // 00000000AA90: 0AFD7D7E
	v_mul_f32_e32 v127, v127, v191                             // 00000000AA94: 0AFF7F7F
	v_pk_mul_f32 v[4:5], v[128:129], v[128:129]                // 00000000AA98: D3B14004 18030180
	v_pk_mul_f32 v[6:7], v[130:131], v[130:131]                // 00000000AAA0: D3B14006 18030582
	v_pk_fma_f32 v[4:5], v[4:5], s[78:79], v[8:9]              // 00000000AAA8: D3B04004 1C209D04
	v_pk_fma_f32 v[6:7], v[6:7], s[78:79], v[8:9]              // 00000000AAB0: D3B04006 1C209D06
	v_pk_mul_f32 v[4:5], v[4:5], v[128:129]                    // 00000000AAB8: D3B14004 18030104
	v_pk_mul_f32 v[6:7], v[6:7], v[130:131]                    // 00000000AAC0: D3B14006 18030506
	v_pk_mul_f32 v[4:5], v[4:5], s[60:61]                      // 00000000AAC8: D3B14004 18007904
	v_pk_mul_f32 v[6:7], v[6:7], s[60:61]                      // 00000000AAD0: D3B14006 18007906
	v_exp_f32_e32 v4, v4                                       // 00000000AAD8: 7E084104
	v_exp_f32_e32 v5, v5                                       // 00000000AADC: 7E0A4105
	v_exp_f32_e32 v6, v6                                       // 00000000AAE0: 7E0C4106
	v_exp_f32_e32 v7, v7                                       // 00000000AAE4: 7E0E4107
	v_add_f32_e64 v4, v4, 1.0                                  // 00000000AAE8: D1010004 0001E504
	v_add_f32_e64 v5, v5, 1.0                                  // 00000000AAF0: D1010005 0001E505
	v_add_f32_e64 v6, v6, 1.0                                  // 00000000AAF8: D1010006 0001E506
	v_add_f32_e64 v7, v7, 1.0                                  // 00000000AB00: D1010007 0001E507
	v_rcp_f32_e32 v4, v4                                       // 00000000AB08: 7E084504
	v_rcp_f32_e32 v5, v5                                       // 00000000AB0C: 7E0A4505
	v_rcp_f32_e32 v6, v6                                       // 00000000AB10: 7E0C4506
	v_rcp_f32_e32 v7, v7                                       // 00000000AB14: 7E0E4507
	v_mul_f32_e32 v128, v128, v4                               // 00000000AB18: 0B000980
	v_mul_f32_e32 v129, v129, v5                               // 00000000AB1C: 0B020B81
	v_mul_f32_e32 v130, v130, v6                               // 00000000AB20: 0B040D82
	v_mul_f32_e32 v131, v131, v7                               // 00000000AB24: 0B060F83
	v_mul_f32_e32 v128, v128, v192                             // 00000000AB28: 0B018180
	v_mul_f32_e32 v129, v129, v193                             // 00000000AB2C: 0B038381
	v_mul_f32_e32 v130, v130, v194                             // 00000000AB30: 0B058582
	v_mul_f32_e32 v131, v131, v195                             // 00000000AB34: 0B078783
	v_pk_mul_f32 v[4:5], v[132:133], v[132:133]                // 00000000AB38: D3B14004 18030984
	v_pk_mul_f32 v[6:7], v[134:135], v[134:135]                // 00000000AB40: D3B14006 18030D86
	v_pk_fma_f32 v[4:5], v[4:5], s[78:79], v[8:9]              // 00000000AB48: D3B04004 1C209D04
	v_pk_fma_f32 v[6:7], v[6:7], s[78:79], v[8:9]              // 00000000AB50: D3B04006 1C209D06
	v_pk_mul_f32 v[4:5], v[4:5], v[132:133]                    // 00000000AB58: D3B14004 18030904
	v_pk_mul_f32 v[6:7], v[6:7], v[134:135]                    // 00000000AB60: D3B14006 18030D06
	v_pk_mul_f32 v[4:5], v[4:5], s[60:61]                      // 00000000AB68: D3B14004 18007904
	v_pk_mul_f32 v[6:7], v[6:7], s[60:61]                      // 00000000AB70: D3B14006 18007906
	v_exp_f32_e32 v4, v4                                       // 00000000AB78: 7E084104
	v_exp_f32_e32 v5, v5                                       // 00000000AB7C: 7E0A4105
	v_exp_f32_e32 v6, v6                                       // 00000000AB80: 7E0C4106
	v_exp_f32_e32 v7, v7                                       // 00000000AB84: 7E0E4107
	v_add_f32_e64 v4, v4, 1.0                                  // 00000000AB88: D1010004 0001E504
	v_add_f32_e64 v5, v5, 1.0                                  // 00000000AB90: D1010005 0001E505
	v_add_f32_e64 v6, v6, 1.0                                  // 00000000AB98: D1010006 0001E506
	v_add_f32_e64 v7, v7, 1.0                                  // 00000000ABA0: D1010007 0001E507
	v_rcp_f32_e32 v4, v4                                       // 00000000ABA8: 7E084504
	v_rcp_f32_e32 v5, v5                                       // 00000000ABAC: 7E0A4505
	v_rcp_f32_e32 v6, v6                                       // 00000000ABB0: 7E0C4506
	v_rcp_f32_e32 v7, v7                                       // 00000000ABB4: 7E0E4507
	v_mul_f32_e32 v132, v132, v4                               // 00000000ABB8: 0B080984
	v_mul_f32_e32 v133, v133, v5                               // 00000000ABBC: 0B0A0B85
	v_mul_f32_e32 v134, v134, v6                               // 00000000ABC0: 0B0C0D86
	v_mul_f32_e32 v135, v135, v7                               // 00000000ABC4: 0B0E0F87
	v_mul_f32_e32 v132, v132, v196                             // 00000000ABC8: 0B098984
	v_mul_f32_e32 v133, v133, v197                             // 00000000ABCC: 0B0B8B85
	v_mul_f32_e32 v134, v134, v198                             // 00000000ABD0: 0B0D8D86
	v_mul_f32_e32 v135, v135, v199                             // 00000000ABD4: 0B0F8F87
	v_pk_mul_f32 v[4:5], v[136:137], v[136:137]                // 00000000ABD8: D3B14004 18031188
	v_pk_mul_f32 v[6:7], v[138:139], v[138:139]                // 00000000ABE0: D3B14006 1803158A
	v_pk_fma_f32 v[4:5], v[4:5], s[78:79], v[8:9]              // 00000000ABE8: D3B04004 1C209D04
	v_pk_fma_f32 v[6:7], v[6:7], s[78:79], v[8:9]              // 00000000ABF0: D3B04006 1C209D06
	v_pk_mul_f32 v[4:5], v[4:5], v[136:137]                    // 00000000ABF8: D3B14004 18031104
	v_pk_mul_f32 v[6:7], v[6:7], v[138:139]                    // 00000000AC00: D3B14006 18031506
	v_pk_mul_f32 v[4:5], v[4:5], s[60:61]                      // 00000000AC08: D3B14004 18007904
	v_pk_mul_f32 v[6:7], v[6:7], s[60:61]                      // 00000000AC10: D3B14006 18007906
	v_exp_f32_e32 v4, v4                                       // 00000000AC18: 7E084104
	v_exp_f32_e32 v5, v5                                       // 00000000AC1C: 7E0A4105
	v_exp_f32_e32 v6, v6                                       // 00000000AC20: 7E0C4106
	v_exp_f32_e32 v7, v7                                       // 00000000AC24: 7E0E4107
	v_add_f32_e64 v4, v4, 1.0                                  // 00000000AC28: D1010004 0001E504
	v_add_f32_e64 v5, v5, 1.0                                  // 00000000AC30: D1010005 0001E505
	v_add_f32_e64 v6, v6, 1.0                                  // 00000000AC38: D1010006 0001E506
	v_add_f32_e64 v7, v7, 1.0                                  // 00000000AC40: D1010007 0001E507
	v_rcp_f32_e32 v4, v4                                       // 00000000AC48: 7E084504
	v_rcp_f32_e32 v5, v5                                       // 00000000AC4C: 7E0A4505
	v_rcp_f32_e32 v6, v6                                       // 00000000AC50: 7E0C4506
	v_rcp_f32_e32 v7, v7                                       // 00000000AC54: 7E0E4507
	v_mul_f32_e32 v136, v136, v4                               // 00000000AC58: 0B100988
	v_mul_f32_e32 v137, v137, v5                               // 00000000AC5C: 0B120B89
	v_mul_f32_e32 v138, v138, v6                               // 00000000AC60: 0B140D8A
	v_mul_f32_e32 v139, v139, v7                               // 00000000AC64: 0B160F8B
	v_mul_f32_e32 v136, v136, v200                             // 00000000AC68: 0B119188
	v_mul_f32_e32 v137, v137, v201                             // 00000000AC6C: 0B139389
	v_mul_f32_e32 v138, v138, v202                             // 00000000AC70: 0B15958A
	v_mul_f32_e32 v139, v139, v203                             // 00000000AC74: 0B17978B
	v_pk_mul_f32 v[4:5], v[140:141], v[140:141]                // 00000000AC78: D3B14004 1803198C
	v_pk_mul_f32 v[6:7], v[142:143], v[142:143]                // 00000000AC80: D3B14006 18031D8E
	v_pk_fma_f32 v[4:5], v[4:5], s[78:79], v[8:9]              // 00000000AC88: D3B04004 1C209D04
	v_pk_fma_f32 v[6:7], v[6:7], s[78:79], v[8:9]              // 00000000AC90: D3B04006 1C209D06
	v_pk_mul_f32 v[4:5], v[4:5], v[140:141]                    // 00000000AC98: D3B14004 18031904
	v_pk_mul_f32 v[6:7], v[6:7], v[142:143]                    // 00000000ACA0: D3B14006 18031D06
	v_pk_mul_f32 v[4:5], v[4:5], s[60:61]                      // 00000000ACA8: D3B14004 18007904
	v_pk_mul_f32 v[6:7], v[6:7], s[60:61]                      // 00000000ACB0: D3B14006 18007906
	v_exp_f32_e32 v4, v4                                       // 00000000ACB8: 7E084104
	v_exp_f32_e32 v5, v5                                       // 00000000ACBC: 7E0A4105
	v_exp_f32_e32 v6, v6                                       // 00000000ACC0: 7E0C4106
	v_exp_f32_e32 v7, v7                                       // 00000000ACC4: 7E0E4107
	v_add_f32_e64 v4, v4, 1.0                                  // 00000000ACC8: D1010004 0001E504
	v_add_f32_e64 v5, v5, 1.0                                  // 00000000ACD0: D1010005 0001E505
	v_add_f32_e64 v6, v6, 1.0                                  // 00000000ACD8: D1010006 0001E506
	v_add_f32_e64 v7, v7, 1.0                                  // 00000000ACE0: D1010007 0001E507
	v_rcp_f32_e32 v4, v4                                       // 00000000ACE8: 7E084504
	v_rcp_f32_e32 v5, v5                                       // 00000000ACEC: 7E0A4505
	v_rcp_f32_e32 v6, v6                                       // 00000000ACF0: 7E0C4506
	v_rcp_f32_e32 v7, v7                                       // 00000000ACF4: 7E0E4507
	v_mul_f32_e32 v140, v140, v4                               // 00000000ACF8: 0B18098C
	v_mul_f32_e32 v141, v141, v5                               // 00000000ACFC: 0B1A0B8D
	v_mul_f32_e32 v142, v142, v6                               // 00000000AD00: 0B1C0D8E
	v_mul_f32_e32 v143, v143, v7                               // 00000000AD04: 0B1E0F8F
	v_mul_f32_e32 v140, v140, v204                             // 00000000AD08: 0B19998C
	v_mul_f32_e32 v141, v141, v205                             // 00000000AD0C: 0B1B9B8D
	v_mul_f32_e32 v142, v142, v206                             // 00000000AD10: 0B1D9D8E
	v_mul_f32_e32 v143, v143, v207                             // 00000000AD14: 0B1F9F8F
	s_branch label_22CA                                        // 00000000AD18: BF820200

000000000000ad1c <label_20CA>:
	v_mul_f32_e64 v4, -v80, s6                                 // 00000000AD1C: D1050004 20000D50
	v_mul_f32_e64 v5, -v81, s6                                 // 00000000AD24: D1050005 20000D51
	v_mul_f32_e64 v6, -v82, s6                                 // 00000000AD2C: D1050006 20000D52
	v_mul_f32_e64 v7, -v83, s6                                 // 00000000AD34: D1050007 20000D53
	v_exp_f32_e32 v4, v4                                       // 00000000AD3C: 7E084104
	v_exp_f32_e32 v5, v5                                       // 00000000AD40: 7E0A4105
	v_exp_f32_e32 v6, v6                                       // 00000000AD44: 7E0C4106
	v_exp_f32_e32 v7, v7                                       // 00000000AD48: 7E0E4107
	v_add_f32_e64 v4, v4, 1.0                                  // 00000000AD4C: D1010004 0001E504
	v_add_f32_e64 v5, v5, 1.0                                  // 00000000AD54: D1010005 0001E505
	v_add_f32_e64 v6, v6, 1.0                                  // 00000000AD5C: D1010006 0001E506
	v_add_f32_e64 v7, v7, 1.0                                  // 00000000AD64: D1010007 0001E507
	v_rcp_f32_e32 v4, v4                                       // 00000000AD6C: 7E084504
	v_rcp_f32_e32 v5, v5                                       // 00000000AD70: 7E0A4505
	v_rcp_f32_e32 v6, v6                                       // 00000000AD74: 7E0C4506
	v_rcp_f32_e32 v7, v7                                       // 00000000AD78: 7E0E4507
	v_mul_f32_e32 v80, v80, v4                                 // 00000000AD7C: 0AA00950
	v_mul_f32_e32 v81, v81, v5                                 // 00000000AD80: 0AA20B51
	v_mul_f32_e32 v82, v82, v6                                 // 00000000AD84: 0AA40D52
	v_mul_f32_e32 v83, v83, v7                                 // 00000000AD88: 0AA60F53
	v_mul_f32_e32 v80, v80, v144                               // 00000000AD8C: 0AA12150
	v_mul_f32_e32 v81, v81, v145                               // 00000000AD90: 0AA32351
	v_mul_f32_e32 v82, v82, v146                               // 00000000AD94: 0AA52552
	v_mul_f32_e32 v83, v83, v147                               // 00000000AD98: 0AA72753
	v_mul_f32_e64 v4, -v84, s6                                 // 00000000AD9C: D1050004 20000D54
	v_mul_f32_e64 v5, -v85, s6                                 // 00000000ADA4: D1050005 20000D55
	v_mul_f32_e64 v6, -v86, s6                                 // 00000000ADAC: D1050006 20000D56
	v_mul_f32_e64 v7, -v87, s6                                 // 00000000ADB4: D1050007 20000D57
	v_exp_f32_e32 v4, v4                                       // 00000000ADBC: 7E084104
	v_exp_f32_e32 v5, v5                                       // 00000000ADC0: 7E0A4105
	v_exp_f32_e32 v6, v6                                       // 00000000ADC4: 7E0C4106
	v_exp_f32_e32 v7, v7                                       // 00000000ADC8: 7E0E4107
	v_add_f32_e64 v4, v4, 1.0                                  // 00000000ADCC: D1010004 0001E504
	v_add_f32_e64 v5, v5, 1.0                                  // 00000000ADD4: D1010005 0001E505
	v_add_f32_e64 v6, v6, 1.0                                  // 00000000ADDC: D1010006 0001E506
	v_add_f32_e64 v7, v7, 1.0                                  // 00000000ADE4: D1010007 0001E507
	v_rcp_f32_e32 v4, v4                                       // 00000000ADEC: 7E084504
	v_rcp_f32_e32 v5, v5                                       // 00000000ADF0: 7E0A4505
	v_rcp_f32_e32 v6, v6                                       // 00000000ADF4: 7E0C4506
	v_rcp_f32_e32 v7, v7                                       // 00000000ADF8: 7E0E4507
	v_mul_f32_e32 v84, v84, v4                                 // 00000000ADFC: 0AA80954
	v_mul_f32_e32 v85, v85, v5                                 // 00000000AE00: 0AAA0B55
	v_mul_f32_e32 v86, v86, v6                                 // 00000000AE04: 0AAC0D56
	v_mul_f32_e32 v87, v87, v7                                 // 00000000AE08: 0AAE0F57
	v_mul_f32_e32 v84, v84, v148                               // 00000000AE0C: 0AA92954
	v_mul_f32_e32 v85, v85, v149                               // 00000000AE10: 0AAB2B55
	v_mul_f32_e32 v86, v86, v150                               // 00000000AE14: 0AAD2D56
	v_mul_f32_e32 v87, v87, v151                               // 00000000AE18: 0AAF2F57
	v_mul_f32_e64 v4, -v88, s6                                 // 00000000AE1C: D1050004 20000D58
	v_mul_f32_e64 v5, -v89, s6                                 // 00000000AE24: D1050005 20000D59
	v_mul_f32_e64 v6, -v90, s6                                 // 00000000AE2C: D1050006 20000D5A
	v_mul_f32_e64 v7, -v91, s6                                 // 00000000AE34: D1050007 20000D5B
	v_exp_f32_e32 v4, v4                                       // 00000000AE3C: 7E084104
	v_exp_f32_e32 v5, v5                                       // 00000000AE40: 7E0A4105
	v_exp_f32_e32 v6, v6                                       // 00000000AE44: 7E0C4106
	v_exp_f32_e32 v7, v7                                       // 00000000AE48: 7E0E4107
	v_add_f32_e64 v4, v4, 1.0                                  // 00000000AE4C: D1010004 0001E504
	v_add_f32_e64 v5, v5, 1.0                                  // 00000000AE54: D1010005 0001E505
	v_add_f32_e64 v6, v6, 1.0                                  // 00000000AE5C: D1010006 0001E506
	v_add_f32_e64 v7, v7, 1.0                                  // 00000000AE64: D1010007 0001E507
	v_rcp_f32_e32 v4, v4                                       // 00000000AE6C: 7E084504
	v_rcp_f32_e32 v5, v5                                       // 00000000AE70: 7E0A4505
	v_rcp_f32_e32 v6, v6                                       // 00000000AE74: 7E0C4506
	v_rcp_f32_e32 v7, v7                                       // 00000000AE78: 7E0E4507
	v_mul_f32_e32 v88, v88, v4                                 // 00000000AE7C: 0AB00958
	v_mul_f32_e32 v89, v89, v5                                 // 00000000AE80: 0AB20B59
	v_mul_f32_e32 v90, v90, v6                                 // 00000000AE84: 0AB40D5A
	v_mul_f32_e32 v91, v91, v7                                 // 00000000AE88: 0AB60F5B
	v_mul_f32_e32 v88, v88, v152                               // 00000000AE8C: 0AB13158
	v_mul_f32_e32 v89, v89, v153                               // 00000000AE90: 0AB33359
	v_mul_f32_e32 v90, v90, v154                               // 00000000AE94: 0AB5355A
	v_mul_f32_e32 v91, v91, v155                               // 00000000AE98: 0AB7375B
	v_mul_f32_e64 v4, -v92, s6                                 // 00000000AE9C: D1050004 20000D5C
	v_mul_f32_e64 v5, -v93, s6                                 // 00000000AEA4: D1050005 20000D5D
	v_mul_f32_e64 v6, -v94, s6                                 // 00000000AEAC: D1050006 20000D5E
	v_mul_f32_e64 v7, -v95, s6                                 // 00000000AEB4: D1050007 20000D5F
	v_exp_f32_e32 v4, v4                                       // 00000000AEBC: 7E084104
	v_exp_f32_e32 v5, v5                                       // 00000000AEC0: 7E0A4105
	v_exp_f32_e32 v6, v6                                       // 00000000AEC4: 7E0C4106
	v_exp_f32_e32 v7, v7                                       // 00000000AEC8: 7E0E4107
	v_add_f32_e64 v4, v4, 1.0                                  // 00000000AECC: D1010004 0001E504
	v_add_f32_e64 v5, v5, 1.0                                  // 00000000AED4: D1010005 0001E505
	v_add_f32_e64 v6, v6, 1.0                                  // 00000000AEDC: D1010006 0001E506
	v_add_f32_e64 v7, v7, 1.0                                  // 00000000AEE4: D1010007 0001E507
	v_rcp_f32_e32 v4, v4                                       // 00000000AEEC: 7E084504
	v_rcp_f32_e32 v5, v5                                       // 00000000AEF0: 7E0A4505
	v_rcp_f32_e32 v6, v6                                       // 00000000AEF4: 7E0C4506
	v_rcp_f32_e32 v7, v7                                       // 00000000AEF8: 7E0E4507
	v_mul_f32_e32 v92, v92, v4                                 // 00000000AEFC: 0AB8095C
	v_mul_f32_e32 v93, v93, v5                                 // 00000000AF00: 0ABA0B5D
	v_mul_f32_e32 v94, v94, v6                                 // 00000000AF04: 0ABC0D5E
	v_mul_f32_e32 v95, v95, v7                                 // 00000000AF08: 0ABE0F5F
	v_mul_f32_e32 v92, v92, v156                               // 00000000AF0C: 0AB9395C
	v_mul_f32_e32 v93, v93, v157                               // 00000000AF10: 0ABB3B5D
	v_mul_f32_e32 v94, v94, v158                               // 00000000AF14: 0ABD3D5E
	v_mul_f32_e32 v95, v95, v159                               // 00000000AF18: 0ABF3F5F
	v_mul_f32_e64 v4, -v96, s6                                 // 00000000AF1C: D1050004 20000D60
	v_mul_f32_e64 v5, -v97, s6                                 // 00000000AF24: D1050005 20000D61
	v_mul_f32_e64 v6, -v98, s6                                 // 00000000AF2C: D1050006 20000D62
	v_mul_f32_e64 v7, -v99, s6                                 // 00000000AF34: D1050007 20000D63
	v_exp_f32_e32 v4, v4                                       // 00000000AF3C: 7E084104
	v_exp_f32_e32 v5, v5                                       // 00000000AF40: 7E0A4105
	v_exp_f32_e32 v6, v6                                       // 00000000AF44: 7E0C4106
	v_exp_f32_e32 v7, v7                                       // 00000000AF48: 7E0E4107
	v_add_f32_e64 v4, v4, 1.0                                  // 00000000AF4C: D1010004 0001E504
	v_add_f32_e64 v5, v5, 1.0                                  // 00000000AF54: D1010005 0001E505
	v_add_f32_e64 v6, v6, 1.0                                  // 00000000AF5C: D1010006 0001E506
	v_add_f32_e64 v7, v7, 1.0                                  // 00000000AF64: D1010007 0001E507
	v_rcp_f32_e32 v4, v4                                       // 00000000AF6C: 7E084504
	v_rcp_f32_e32 v5, v5                                       // 00000000AF70: 7E0A4505
	v_rcp_f32_e32 v6, v6                                       // 00000000AF74: 7E0C4506
	v_rcp_f32_e32 v7, v7                                       // 00000000AF78: 7E0E4507
	v_mul_f32_e32 v96, v96, v4                                 // 00000000AF7C: 0AC00960
	v_mul_f32_e32 v97, v97, v5                                 // 00000000AF80: 0AC20B61
	v_mul_f32_e32 v98, v98, v6                                 // 00000000AF84: 0AC40D62
	v_mul_f32_e32 v99, v99, v7                                 // 00000000AF88: 0AC60F63
	v_mul_f32_e32 v96, v96, v160                               // 00000000AF8C: 0AC14160
	v_mul_f32_e32 v97, v97, v161                               // 00000000AF90: 0AC34361
	v_mul_f32_e32 v98, v98, v162                               // 00000000AF94: 0AC54562
	v_mul_f32_e32 v99, v99, v163                               // 00000000AF98: 0AC74763
	v_mul_f32_e64 v4, -v100, s6                                // 00000000AF9C: D1050004 20000D64
	v_mul_f32_e64 v5, -v101, s6                                // 00000000AFA4: D1050005 20000D65
	v_mul_f32_e64 v6, -v102, s6                                // 00000000AFAC: D1050006 20000D66
	v_mul_f32_e64 v7, -v103, s6                                // 00000000AFB4: D1050007 20000D67
	v_exp_f32_e32 v4, v4                                       // 00000000AFBC: 7E084104
	v_exp_f32_e32 v5, v5                                       // 00000000AFC0: 7E0A4105
	v_exp_f32_e32 v6, v6                                       // 00000000AFC4: 7E0C4106
	v_exp_f32_e32 v7, v7                                       // 00000000AFC8: 7E0E4107
	v_add_f32_e64 v4, v4, 1.0                                  // 00000000AFCC: D1010004 0001E504
	v_add_f32_e64 v5, v5, 1.0                                  // 00000000AFD4: D1010005 0001E505
	v_add_f32_e64 v6, v6, 1.0                                  // 00000000AFDC: D1010006 0001E506
	v_add_f32_e64 v7, v7, 1.0                                  // 00000000AFE4: D1010007 0001E507
	v_rcp_f32_e32 v4, v4                                       // 00000000AFEC: 7E084504
	v_rcp_f32_e32 v5, v5                                       // 00000000AFF0: 7E0A4505
	v_rcp_f32_e32 v6, v6                                       // 00000000AFF4: 7E0C4506
	v_rcp_f32_e32 v7, v7                                       // 00000000AFF8: 7E0E4507
	v_mul_f32_e32 v100, v100, v4                               // 00000000AFFC: 0AC80964
	v_mul_f32_e32 v101, v101, v5                               // 00000000B000: 0ACA0B65
	v_mul_f32_e32 v102, v102, v6                               // 00000000B004: 0ACC0D66
	v_mul_f32_e32 v103, v103, v7                               // 00000000B008: 0ACE0F67
	v_mul_f32_e32 v100, v100, v164                             // 00000000B00C: 0AC94964
	v_mul_f32_e32 v101, v101, v165                             // 00000000B010: 0ACB4B65
	v_mul_f32_e32 v102, v102, v166                             // 00000000B014: 0ACD4D66
	v_mul_f32_e32 v103, v103, v167                             // 00000000B018: 0ACF4F67
	v_mul_f32_e64 v4, -v104, s6                                // 00000000B01C: D1050004 20000D68
	v_mul_f32_e64 v5, -v105, s6                                // 00000000B024: D1050005 20000D69
	v_mul_f32_e64 v6, -v106, s6                                // 00000000B02C: D1050006 20000D6A
	v_mul_f32_e64 v7, -v107, s6                                // 00000000B034: D1050007 20000D6B
	v_exp_f32_e32 v4, v4                                       // 00000000B03C: 7E084104
	v_exp_f32_e32 v5, v5                                       // 00000000B040: 7E0A4105
	v_exp_f32_e32 v6, v6                                       // 00000000B044: 7E0C4106
	v_exp_f32_e32 v7, v7                                       // 00000000B048: 7E0E4107
	v_add_f32_e64 v4, v4, 1.0                                  // 00000000B04C: D1010004 0001E504
	v_add_f32_e64 v5, v5, 1.0                                  // 00000000B054: D1010005 0001E505
	v_add_f32_e64 v6, v6, 1.0                                  // 00000000B05C: D1010006 0001E506
	v_add_f32_e64 v7, v7, 1.0                                  // 00000000B064: D1010007 0001E507
	v_rcp_f32_e32 v4, v4                                       // 00000000B06C: 7E084504
	v_rcp_f32_e32 v5, v5                                       // 00000000B070: 7E0A4505
	v_rcp_f32_e32 v6, v6                                       // 00000000B074: 7E0C4506
	v_rcp_f32_e32 v7, v7                                       // 00000000B078: 7E0E4507
	v_mul_f32_e32 v104, v104, v4                               // 00000000B07C: 0AD00968
	v_mul_f32_e32 v105, v105, v5                               // 00000000B080: 0AD20B69
	v_mul_f32_e32 v106, v106, v6                               // 00000000B084: 0AD40D6A
	v_mul_f32_e32 v107, v107, v7                               // 00000000B088: 0AD60F6B
	v_mul_f32_e32 v104, v104, v168                             // 00000000B08C: 0AD15168
	v_mul_f32_e32 v105, v105, v169                             // 00000000B090: 0AD35369
	v_mul_f32_e32 v106, v106, v170                             // 00000000B094: 0AD5556A
	v_mul_f32_e32 v107, v107, v171                             // 00000000B098: 0AD7576B
	v_mul_f32_e64 v4, -v108, s6                                // 00000000B09C: D1050004 20000D6C
	v_mul_f32_e64 v5, -v109, s6                                // 00000000B0A4: D1050005 20000D6D
	v_mul_f32_e64 v6, -v110, s6                                // 00000000B0AC: D1050006 20000D6E
	v_mul_f32_e64 v7, -v111, s6                                // 00000000B0B4: D1050007 20000D6F
	v_exp_f32_e32 v4, v4                                       // 00000000B0BC: 7E084104
	v_exp_f32_e32 v5, v5                                       // 00000000B0C0: 7E0A4105
	v_exp_f32_e32 v6, v6                                       // 00000000B0C4: 7E0C4106
	v_exp_f32_e32 v7, v7                                       // 00000000B0C8: 7E0E4107
	v_add_f32_e64 v4, v4, 1.0                                  // 00000000B0CC: D1010004 0001E504
	v_add_f32_e64 v5, v5, 1.0                                  // 00000000B0D4: D1010005 0001E505
	v_add_f32_e64 v6, v6, 1.0                                  // 00000000B0DC: D1010006 0001E506
	v_add_f32_e64 v7, v7, 1.0                                  // 00000000B0E4: D1010007 0001E507
	v_rcp_f32_e32 v4, v4                                       // 00000000B0EC: 7E084504
	v_rcp_f32_e32 v5, v5                                       // 00000000B0F0: 7E0A4505
	v_rcp_f32_e32 v6, v6                                       // 00000000B0F4: 7E0C4506
	v_rcp_f32_e32 v7, v7                                       // 00000000B0F8: 7E0E4507
	v_mul_f32_e32 v108, v108, v4                               // 00000000B0FC: 0AD8096C
	v_mul_f32_e32 v109, v109, v5                               // 00000000B100: 0ADA0B6D
	v_mul_f32_e32 v110, v110, v6                               // 00000000B104: 0ADC0D6E
	v_mul_f32_e32 v111, v111, v7                               // 00000000B108: 0ADE0F6F
	v_mul_f32_e32 v108, v108, v172                             // 00000000B10C: 0AD9596C
	v_mul_f32_e32 v109, v109, v173                             // 00000000B110: 0ADB5B6D
	v_mul_f32_e32 v110, v110, v174                             // 00000000B114: 0ADD5D6E
	v_mul_f32_e32 v111, v111, v175                             // 00000000B118: 0ADF5F6F
	v_mul_f32_e64 v4, -v112, s6                                // 00000000B11C: D1050004 20000D70
	v_mul_f32_e64 v5, -v113, s6                                // 00000000B124: D1050005 20000D71
	v_mul_f32_e64 v6, -v114, s6                                // 00000000B12C: D1050006 20000D72
	v_mul_f32_e64 v7, -v115, s6                                // 00000000B134: D1050007 20000D73
	v_exp_f32_e32 v4, v4                                       // 00000000B13C: 7E084104
	v_exp_f32_e32 v5, v5                                       // 00000000B140: 7E0A4105
	v_exp_f32_e32 v6, v6                                       // 00000000B144: 7E0C4106
	v_exp_f32_e32 v7, v7                                       // 00000000B148: 7E0E4107
	v_add_f32_e64 v4, v4, 1.0                                  // 00000000B14C: D1010004 0001E504
	v_add_f32_e64 v5, v5, 1.0                                  // 00000000B154: D1010005 0001E505
	v_add_f32_e64 v6, v6, 1.0                                  // 00000000B15C: D1010006 0001E506
	v_add_f32_e64 v7, v7, 1.0                                  // 00000000B164: D1010007 0001E507
	v_rcp_f32_e32 v4, v4                                       // 00000000B16C: 7E084504
	v_rcp_f32_e32 v5, v5                                       // 00000000B170: 7E0A4505
	v_rcp_f32_e32 v6, v6                                       // 00000000B174: 7E0C4506
	v_rcp_f32_e32 v7, v7                                       // 00000000B178: 7E0E4507
	v_mul_f32_e32 v112, v112, v4                               // 00000000B17C: 0AE00970
	v_mul_f32_e32 v113, v113, v5                               // 00000000B180: 0AE20B71
	v_mul_f32_e32 v114, v114, v6                               // 00000000B184: 0AE40D72
	v_mul_f32_e32 v115, v115, v7                               // 00000000B188: 0AE60F73
	v_mul_f32_e32 v112, v112, v176                             // 00000000B18C: 0AE16170
	v_mul_f32_e32 v113, v113, v177                             // 00000000B190: 0AE36371
	v_mul_f32_e32 v114, v114, v178                             // 00000000B194: 0AE56572
	v_mul_f32_e32 v115, v115, v179                             // 00000000B198: 0AE76773
	v_mul_f32_e64 v4, -v116, s6                                // 00000000B19C: D1050004 20000D74
	v_mul_f32_e64 v5, -v117, s6                                // 00000000B1A4: D1050005 20000D75
	v_mul_f32_e64 v6, -v118, s6                                // 00000000B1AC: D1050006 20000D76
	v_mul_f32_e64 v7, -v119, s6                                // 00000000B1B4: D1050007 20000D77
	v_exp_f32_e32 v4, v4                                       // 00000000B1BC: 7E084104
	v_exp_f32_e32 v5, v5                                       // 00000000B1C0: 7E0A4105
	v_exp_f32_e32 v6, v6                                       // 00000000B1C4: 7E0C4106
	v_exp_f32_e32 v7, v7                                       // 00000000B1C8: 7E0E4107
	v_add_f32_e64 v4, v4, 1.0                                  // 00000000B1CC: D1010004 0001E504
	v_add_f32_e64 v5, v5, 1.0                                  // 00000000B1D4: D1010005 0001E505
	v_add_f32_e64 v6, v6, 1.0                                  // 00000000B1DC: D1010006 0001E506
	v_add_f32_e64 v7, v7, 1.0                                  // 00000000B1E4: D1010007 0001E507
	v_rcp_f32_e32 v4, v4                                       // 00000000B1EC: 7E084504
	v_rcp_f32_e32 v5, v5                                       // 00000000B1F0: 7E0A4505
	v_rcp_f32_e32 v6, v6                                       // 00000000B1F4: 7E0C4506
	v_rcp_f32_e32 v7, v7                                       // 00000000B1F8: 7E0E4507
	v_mul_f32_e32 v116, v116, v4                               // 00000000B1FC: 0AE80974
	v_mul_f32_e32 v117, v117, v5                               // 00000000B200: 0AEA0B75
	v_mul_f32_e32 v118, v118, v6                               // 00000000B204: 0AEC0D76
	v_mul_f32_e32 v119, v119, v7                               // 00000000B208: 0AEE0F77
	v_mul_f32_e32 v116, v116, v180                             // 00000000B20C: 0AE96974
	v_mul_f32_e32 v117, v117, v181                             // 00000000B210: 0AEB6B75
	v_mul_f32_e32 v118, v118, v182                             // 00000000B214: 0AED6D76
	v_mul_f32_e32 v119, v119, v183                             // 00000000B218: 0AEF6F77
	v_mul_f32_e64 v4, -v120, s6                                // 00000000B21C: D1050004 20000D78
	v_mul_f32_e64 v5, -v121, s6                                // 00000000B224: D1050005 20000D79
	v_mul_f32_e64 v6, -v122, s6                                // 00000000B22C: D1050006 20000D7A
	v_mul_f32_e64 v7, -v123, s6                                // 00000000B234: D1050007 20000D7B
	v_exp_f32_e32 v4, v4                                       // 00000000B23C: 7E084104
	v_exp_f32_e32 v5, v5                                       // 00000000B240: 7E0A4105
	v_exp_f32_e32 v6, v6                                       // 00000000B244: 7E0C4106
	v_exp_f32_e32 v7, v7                                       // 00000000B248: 7E0E4107
	v_add_f32_e64 v4, v4, 1.0                                  // 00000000B24C: D1010004 0001E504
	v_add_f32_e64 v5, v5, 1.0                                  // 00000000B254: D1010005 0001E505
	v_add_f32_e64 v6, v6, 1.0                                  // 00000000B25C: D1010006 0001E506
	v_add_f32_e64 v7, v7, 1.0                                  // 00000000B264: D1010007 0001E507
	v_rcp_f32_e32 v4, v4                                       // 00000000B26C: 7E084504
	v_rcp_f32_e32 v5, v5                                       // 00000000B270: 7E0A4505
	v_rcp_f32_e32 v6, v6                                       // 00000000B274: 7E0C4506
	v_rcp_f32_e32 v7, v7                                       // 00000000B278: 7E0E4507
	v_mul_f32_e32 v120, v120, v4                               // 00000000B27C: 0AF00978
	v_mul_f32_e32 v121, v121, v5                               // 00000000B280: 0AF20B79
	v_mul_f32_e32 v122, v122, v6                               // 00000000B284: 0AF40D7A
	v_mul_f32_e32 v123, v123, v7                               // 00000000B288: 0AF60F7B
	v_mul_f32_e32 v120, v120, v184                             // 00000000B28C: 0AF17178
	v_mul_f32_e32 v121, v121, v185                             // 00000000B290: 0AF37379
	v_mul_f32_e32 v122, v122, v186                             // 00000000B294: 0AF5757A
	v_mul_f32_e32 v123, v123, v187                             // 00000000B298: 0AF7777B
	v_mul_f32_e64 v4, -v124, s6                                // 00000000B29C: D1050004 20000D7C
	v_mul_f32_e64 v5, -v125, s6                                // 00000000B2A4: D1050005 20000D7D
	v_mul_f32_e64 v6, -v126, s6                                // 00000000B2AC: D1050006 20000D7E
	v_mul_f32_e64 v7, -v127, s6                                // 00000000B2B4: D1050007 20000D7F
	v_exp_f32_e32 v4, v4                                       // 00000000B2BC: 7E084104
	v_exp_f32_e32 v5, v5                                       // 00000000B2C0: 7E0A4105
	v_exp_f32_e32 v6, v6                                       // 00000000B2C4: 7E0C4106
	v_exp_f32_e32 v7, v7                                       // 00000000B2C8: 7E0E4107
	v_add_f32_e64 v4, v4, 1.0                                  // 00000000B2CC: D1010004 0001E504
	v_add_f32_e64 v5, v5, 1.0                                  // 00000000B2D4: D1010005 0001E505
	v_add_f32_e64 v6, v6, 1.0                                  // 00000000B2DC: D1010006 0001E506
	v_add_f32_e64 v7, v7, 1.0                                  // 00000000B2E4: D1010007 0001E507
	v_rcp_f32_e32 v4, v4                                       // 00000000B2EC: 7E084504
	v_rcp_f32_e32 v5, v5                                       // 00000000B2F0: 7E0A4505
	v_rcp_f32_e32 v6, v6                                       // 00000000B2F4: 7E0C4506
	v_rcp_f32_e32 v7, v7                                       // 00000000B2F8: 7E0E4507
	v_mul_f32_e32 v124, v124, v4                               // 00000000B2FC: 0AF8097C
	v_mul_f32_e32 v125, v125, v5                               // 00000000B300: 0AFA0B7D
	v_mul_f32_e32 v126, v126, v6                               // 00000000B304: 0AFC0D7E
	v_mul_f32_e32 v127, v127, v7                               // 00000000B308: 0AFE0F7F
	v_mul_f32_e32 v124, v124, v188                             // 00000000B30C: 0AF9797C
	v_mul_f32_e32 v125, v125, v189                             // 00000000B310: 0AFB7B7D
	v_mul_f32_e32 v126, v126, v190                             // 00000000B314: 0AFD7D7E
	v_mul_f32_e32 v127, v127, v191                             // 00000000B318: 0AFF7F7F
	v_mul_f32_e64 v4, -v128, s6                                // 00000000B31C: D1050004 20000D80
	v_mul_f32_e64 v5, -v129, s6                                // 00000000B324: D1050005 20000D81
	v_mul_f32_e64 v6, -v130, s6                                // 00000000B32C: D1050006 20000D82
	v_mul_f32_e64 v7, -v131, s6                                // 00000000B334: D1050007 20000D83
	v_exp_f32_e32 v4, v4                                       // 00000000B33C: 7E084104
	v_exp_f32_e32 v5, v5                                       // 00000000B340: 7E0A4105
	v_exp_f32_e32 v6, v6                                       // 00000000B344: 7E0C4106
	v_exp_f32_e32 v7, v7                                       // 00000000B348: 7E0E4107
	v_add_f32_e64 v4, v4, 1.0                                  // 00000000B34C: D1010004 0001E504
	v_add_f32_e64 v5, v5, 1.0                                  // 00000000B354: D1010005 0001E505
	v_add_f32_e64 v6, v6, 1.0                                  // 00000000B35C: D1010006 0001E506
	v_add_f32_e64 v7, v7, 1.0                                  // 00000000B364: D1010007 0001E507
	v_rcp_f32_e32 v4, v4                                       // 00000000B36C: 7E084504
	v_rcp_f32_e32 v5, v5                                       // 00000000B370: 7E0A4505
	v_rcp_f32_e32 v6, v6                                       // 00000000B374: 7E0C4506
	v_rcp_f32_e32 v7, v7                                       // 00000000B378: 7E0E4507
	v_mul_f32_e32 v128, v128, v4                               // 00000000B37C: 0B000980
	v_mul_f32_e32 v129, v129, v5                               // 00000000B380: 0B020B81
	v_mul_f32_e32 v130, v130, v6                               // 00000000B384: 0B040D82
	v_mul_f32_e32 v131, v131, v7                               // 00000000B388: 0B060F83
	v_mul_f32_e32 v128, v128, v192                             // 00000000B38C: 0B018180
	v_mul_f32_e32 v129, v129, v193                             // 00000000B390: 0B038381
	v_mul_f32_e32 v130, v130, v194                             // 00000000B394: 0B058582
	v_mul_f32_e32 v131, v131, v195                             // 00000000B398: 0B078783
	v_mul_f32_e64 v4, -v132, s6                                // 00000000B39C: D1050004 20000D84
	v_mul_f32_e64 v5, -v133, s6                                // 00000000B3A4: D1050005 20000D85
	v_mul_f32_e64 v6, -v134, s6                                // 00000000B3AC: D1050006 20000D86
	v_mul_f32_e64 v7, -v135, s6                                // 00000000B3B4: D1050007 20000D87
	v_exp_f32_e32 v4, v4                                       // 00000000B3BC: 7E084104
	v_exp_f32_e32 v5, v5                                       // 00000000B3C0: 7E0A4105
	v_exp_f32_e32 v6, v6                                       // 00000000B3C4: 7E0C4106
	v_exp_f32_e32 v7, v7                                       // 00000000B3C8: 7E0E4107
	v_add_f32_e64 v4, v4, 1.0                                  // 00000000B3CC: D1010004 0001E504
	v_add_f32_e64 v5, v5, 1.0                                  // 00000000B3D4: D1010005 0001E505
	v_add_f32_e64 v6, v6, 1.0                                  // 00000000B3DC: D1010006 0001E506
	v_add_f32_e64 v7, v7, 1.0                                  // 00000000B3E4: D1010007 0001E507
	v_rcp_f32_e32 v4, v4                                       // 00000000B3EC: 7E084504
	v_rcp_f32_e32 v5, v5                                       // 00000000B3F0: 7E0A4505
	v_rcp_f32_e32 v6, v6                                       // 00000000B3F4: 7E0C4506
	v_rcp_f32_e32 v7, v7                                       // 00000000B3F8: 7E0E4507
	v_mul_f32_e32 v132, v132, v4                               // 00000000B3FC: 0B080984
	v_mul_f32_e32 v133, v133, v5                               // 00000000B400: 0B0A0B85
	v_mul_f32_e32 v134, v134, v6                               // 00000000B404: 0B0C0D86
	v_mul_f32_e32 v135, v135, v7                               // 00000000B408: 0B0E0F87
	v_mul_f32_e32 v132, v132, v196                             // 00000000B40C: 0B098984
	v_mul_f32_e32 v133, v133, v197                             // 00000000B410: 0B0B8B85
	v_mul_f32_e32 v134, v134, v198                             // 00000000B414: 0B0D8D86
	v_mul_f32_e32 v135, v135, v199                             // 00000000B418: 0B0F8F87
	v_mul_f32_e64 v4, -v136, s6                                // 00000000B41C: D1050004 20000D88
	v_mul_f32_e64 v5, -v137, s6                                // 00000000B424: D1050005 20000D89
	v_mul_f32_e64 v6, -v138, s6                                // 00000000B42C: D1050006 20000D8A
	v_mul_f32_e64 v7, -v139, s6                                // 00000000B434: D1050007 20000D8B
	v_exp_f32_e32 v4, v4                                       // 00000000B43C: 7E084104
	v_exp_f32_e32 v5, v5                                       // 00000000B440: 7E0A4105
	v_exp_f32_e32 v6, v6                                       // 00000000B444: 7E0C4106
	v_exp_f32_e32 v7, v7                                       // 00000000B448: 7E0E4107
	v_add_f32_e64 v4, v4, 1.0                                  // 00000000B44C: D1010004 0001E504
	v_add_f32_e64 v5, v5, 1.0                                  // 00000000B454: D1010005 0001E505
	v_add_f32_e64 v6, v6, 1.0                                  // 00000000B45C: D1010006 0001E506
	v_add_f32_e64 v7, v7, 1.0                                  // 00000000B464: D1010007 0001E507
	v_rcp_f32_e32 v4, v4                                       // 00000000B46C: 7E084504
	v_rcp_f32_e32 v5, v5                                       // 00000000B470: 7E0A4505
	v_rcp_f32_e32 v6, v6                                       // 00000000B474: 7E0C4506
	v_rcp_f32_e32 v7, v7                                       // 00000000B478: 7E0E4507
	v_mul_f32_e32 v136, v136, v4                               // 00000000B47C: 0B100988
	v_mul_f32_e32 v137, v137, v5                               // 00000000B480: 0B120B89
	v_mul_f32_e32 v138, v138, v6                               // 00000000B484: 0B140D8A
	v_mul_f32_e32 v139, v139, v7                               // 00000000B488: 0B160F8B
	v_mul_f32_e32 v136, v136, v200                             // 00000000B48C: 0B119188
	v_mul_f32_e32 v137, v137, v201                             // 00000000B490: 0B139389
	v_mul_f32_e32 v138, v138, v202                             // 00000000B494: 0B15958A
	v_mul_f32_e32 v139, v139, v203                             // 00000000B498: 0B17978B
	v_mul_f32_e64 v4, -v140, s6                                // 00000000B49C: D1050004 20000D8C
	v_mul_f32_e64 v5, -v141, s6                                // 00000000B4A4: D1050005 20000D8D
	v_mul_f32_e64 v6, -v142, s6                                // 00000000B4AC: D1050006 20000D8E
	v_mul_f32_e64 v7, -v143, s6                                // 00000000B4B4: D1050007 20000D8F
	v_exp_f32_e32 v4, v4                                       // 00000000B4BC: 7E084104
	v_exp_f32_e32 v5, v5                                       // 00000000B4C0: 7E0A4105
	v_exp_f32_e32 v6, v6                                       // 00000000B4C4: 7E0C4106
	v_exp_f32_e32 v7, v7                                       // 00000000B4C8: 7E0E4107
	v_add_f32_e64 v4, v4, 1.0                                  // 00000000B4CC: D1010004 0001E504
	v_add_f32_e64 v5, v5, 1.0                                  // 00000000B4D4: D1010005 0001E505
	v_add_f32_e64 v6, v6, 1.0                                  // 00000000B4DC: D1010006 0001E506
	v_add_f32_e64 v7, v7, 1.0                                  // 00000000B4E4: D1010007 0001E507
	v_rcp_f32_e32 v4, v4                                       // 00000000B4EC: 7E084504
	v_rcp_f32_e32 v5, v5                                       // 00000000B4F0: 7E0A4505
	v_rcp_f32_e32 v6, v6                                       // 00000000B4F4: 7E0C4506
	v_rcp_f32_e32 v7, v7                                       // 00000000B4F8: 7E0E4507
	v_mul_f32_e32 v140, v140, v4                               // 00000000B4FC: 0B18098C
	v_mul_f32_e32 v141, v141, v5                               // 00000000B500: 0B1A0B8D
	v_mul_f32_e32 v142, v142, v6                               // 00000000B504: 0B1C0D8E
	v_mul_f32_e32 v143, v143, v7                               // 00000000B508: 0B1E0F8F
	v_mul_f32_e32 v140, v140, v204                             // 00000000B50C: 0B19998C
	v_mul_f32_e32 v141, v141, v205                             // 00000000B510: 0B1B9B8D
	v_mul_f32_e32 v142, v142, v206                             // 00000000B514: 0B1D9D8E
	v_mul_f32_e32 v143, v143, v207                             // 00000000B518: 0B1F9F8F

000000000000b51c <label_22CA>:
	v_cmp_u_f32_e64 s[46:47], v80, v80                         // 00000000B51C: D048002E 0002A150
	v_add3_u32 v16, v80, v19, 1                                // 00000000B524: D1FF0010 02062750
	v_cndmask_b32_e64 v4, v16, v18, s[46:47]                   // 00000000B52C: D1000004 00BA2510
	v_cmp_u_f32_e64 s[46:47], v81, v81                         // 00000000B534: D048002E 0002A351
	v_add3_u32 v16, v81, v19, 1                                // 00000000B53C: D1FF0010 02062751
	v_cndmask_b32_e64 v5, v16, v18, s[46:47]                   // 00000000B544: D1000005 00BA2510
	v_perm_b32 v80, v5, v4, s52                                // 00000000B54C: D1ED0050 00D20905
	v_cmp_u_f32_e64 s[46:47], v82, v82                         // 00000000B554: D048002E 0002A552
	v_add3_u32 v16, v82, v19, 1                                // 00000000B55C: D1FF0010 02062752
	v_cndmask_b32_e64 v4, v16, v18, s[46:47]                   // 00000000B564: D1000004 00BA2510
	v_cmp_u_f32_e64 s[46:47], v83, v83                         // 00000000B56C: D048002E 0002A753
	v_add3_u32 v16, v83, v19, 1                                // 00000000B574: D1FF0010 02062753
	v_cndmask_b32_e64 v5, v16, v18, s[46:47]                   // 00000000B57C: D1000005 00BA2510
	v_perm_b32 v81, v5, v4, s52                                // 00000000B584: D1ED0051 00D20905
	v_cmp_u_f32_e64 s[46:47], v84, v84                         // 00000000B58C: D048002E 0002A954
	v_add3_u32 v16, v84, v19, 1                                // 00000000B594: D1FF0010 02062754
	v_cndmask_b32_e64 v4, v16, v18, s[46:47]                   // 00000000B59C: D1000004 00BA2510
	v_cmp_u_f32_e64 s[46:47], v85, v85                         // 00000000B5A4: D048002E 0002AB55
	v_add3_u32 v16, v85, v19, 1                                // 00000000B5AC: D1FF0010 02062755
	v_cndmask_b32_e64 v5, v16, v18, s[46:47]                   // 00000000B5B4: D1000005 00BA2510
	v_perm_b32 v82, v5, v4, s52                                // 00000000B5BC: D1ED0052 00D20905
	v_cmp_u_f32_e64 s[46:47], v86, v86                         // 00000000B5C4: D048002E 0002AD56
	v_add3_u32 v16, v86, v19, 1                                // 00000000B5CC: D1FF0010 02062756
	v_cndmask_b32_e64 v4, v16, v18, s[46:47]                   // 00000000B5D4: D1000004 00BA2510
	v_cmp_u_f32_e64 s[46:47], v87, v87                         // 00000000B5DC: D048002E 0002AF57
	v_add3_u32 v16, v87, v19, 1                                // 00000000B5E4: D1FF0010 02062757
	v_cndmask_b32_e64 v5, v16, v18, s[46:47]                   // 00000000B5EC: D1000005 00BA2510
	v_perm_b32 v83, v5, v4, s52                                // 00000000B5F4: D1ED0053 00D20905
	v_cmp_u_f32_e64 s[46:47], v88, v88                         // 00000000B5FC: D048002E 0002B158
	v_add3_u32 v16, v88, v19, 1                                // 00000000B604: D1FF0010 02062758
	v_cndmask_b32_e64 v4, v16, v18, s[46:47]                   // 00000000B60C: D1000004 00BA2510
	v_cmp_u_f32_e64 s[46:47], v89, v89                         // 00000000B614: D048002E 0002B359
	v_add3_u32 v16, v89, v19, 1                                // 00000000B61C: D1FF0010 02062759
	v_cndmask_b32_e64 v5, v16, v18, s[46:47]                   // 00000000B624: D1000005 00BA2510
	v_perm_b32 v84, v5, v4, s52                                // 00000000B62C: D1ED0054 00D20905
	v_cmp_u_f32_e64 s[46:47], v90, v90                         // 00000000B634: D048002E 0002B55A
	v_add3_u32 v16, v90, v19, 1                                // 00000000B63C: D1FF0010 0206275A
	v_cndmask_b32_e64 v4, v16, v18, s[46:47]                   // 00000000B644: D1000004 00BA2510
	v_cmp_u_f32_e64 s[46:47], v91, v91                         // 00000000B64C: D048002E 0002B75B
	v_add3_u32 v16, v91, v19, 1                                // 00000000B654: D1FF0010 0206275B
	v_cndmask_b32_e64 v5, v16, v18, s[46:47]                   // 00000000B65C: D1000005 00BA2510
	v_perm_b32 v85, v5, v4, s52                                // 00000000B664: D1ED0055 00D20905
	v_cmp_u_f32_e64 s[46:47], v92, v92                         // 00000000B66C: D048002E 0002B95C
	v_add3_u32 v16, v92, v19, 1                                // 00000000B674: D1FF0010 0206275C
	v_cndmask_b32_e64 v4, v16, v18, s[46:47]                   // 00000000B67C: D1000004 00BA2510
	v_cmp_u_f32_e64 s[46:47], v93, v93                         // 00000000B684: D048002E 0002BB5D
	v_add3_u32 v16, v93, v19, 1                                // 00000000B68C: D1FF0010 0206275D
	v_cndmask_b32_e64 v5, v16, v18, s[46:47]                   // 00000000B694: D1000005 00BA2510
	v_perm_b32 v86, v5, v4, s52                                // 00000000B69C: D1ED0056 00D20905
	v_cmp_u_f32_e64 s[46:47], v94, v94                         // 00000000B6A4: D048002E 0002BD5E
	v_add3_u32 v16, v94, v19, 1                                // 00000000B6AC: D1FF0010 0206275E
	v_cndmask_b32_e64 v4, v16, v18, s[46:47]                   // 00000000B6B4: D1000004 00BA2510
	v_cmp_u_f32_e64 s[46:47], v95, v95                         // 00000000B6BC: D048002E 0002BF5F
	v_add3_u32 v16, v95, v19, 1                                // 00000000B6C4: D1FF0010 0206275F
	v_cndmask_b32_e64 v5, v16, v18, s[46:47]                   // 00000000B6CC: D1000005 00BA2510
	v_perm_b32 v87, v5, v4, s52                                // 00000000B6D4: D1ED0057 00D20905
	v_cmp_u_f32_e64 s[46:47], v96, v96                         // 00000000B6DC: D048002E 0002C160
	v_add3_u32 v16, v96, v19, 1                                // 00000000B6E4: D1FF0010 02062760
	v_cndmask_b32_e64 v4, v16, v18, s[46:47]                   // 00000000B6EC: D1000004 00BA2510
	v_cmp_u_f32_e64 s[46:47], v97, v97                         // 00000000B6F4: D048002E 0002C361
	v_add3_u32 v16, v97, v19, 1                                // 00000000B6FC: D1FF0010 02062761
	v_cndmask_b32_e64 v5, v16, v18, s[46:47]                   // 00000000B704: D1000005 00BA2510
	v_perm_b32 v88, v5, v4, s52                                // 00000000B70C: D1ED0058 00D20905
	v_cmp_u_f32_e64 s[46:47], v98, v98                         // 00000000B714: D048002E 0002C562
	v_add3_u32 v16, v98, v19, 1                                // 00000000B71C: D1FF0010 02062762
	v_cndmask_b32_e64 v4, v16, v18, s[46:47]                   // 00000000B724: D1000004 00BA2510
	v_cmp_u_f32_e64 s[46:47], v99, v99                         // 00000000B72C: D048002E 0002C763
	v_add3_u32 v16, v99, v19, 1                                // 00000000B734: D1FF0010 02062763
	v_cndmask_b32_e64 v5, v16, v18, s[46:47]                   // 00000000B73C: D1000005 00BA2510
	v_perm_b32 v89, v5, v4, s52                                // 00000000B744: D1ED0059 00D20905
	v_cmp_u_f32_e64 s[46:47], v100, v100                       // 00000000B74C: D048002E 0002C964
	v_add3_u32 v16, v100, v19, 1                               // 00000000B754: D1FF0010 02062764
	v_cndmask_b32_e64 v4, v16, v18, s[46:47]                   // 00000000B75C: D1000004 00BA2510
	v_cmp_u_f32_e64 s[46:47], v101, v101                       // 00000000B764: D048002E 0002CB65
	v_add3_u32 v16, v101, v19, 1                               // 00000000B76C: D1FF0010 02062765
	v_cndmask_b32_e64 v5, v16, v18, s[46:47]                   // 00000000B774: D1000005 00BA2510
	v_perm_b32 v90, v5, v4, s52                                // 00000000B77C: D1ED005A 00D20905
	v_cmp_u_f32_e64 s[46:47], v102, v102                       // 00000000B784: D048002E 0002CD66
	v_add3_u32 v16, v102, v19, 1                               // 00000000B78C: D1FF0010 02062766
	v_cndmask_b32_e64 v4, v16, v18, s[46:47]                   // 00000000B794: D1000004 00BA2510
	v_cmp_u_f32_e64 s[46:47], v103, v103                       // 00000000B79C: D048002E 0002CF67
	v_add3_u32 v16, v103, v19, 1                               // 00000000B7A4: D1FF0010 02062767
	v_cndmask_b32_e64 v5, v16, v18, s[46:47]                   // 00000000B7AC: D1000005 00BA2510
	v_perm_b32 v91, v5, v4, s52                                // 00000000B7B4: D1ED005B 00D20905
	v_cmp_u_f32_e64 s[46:47], v104, v104                       // 00000000B7BC: D048002E 0002D168
	v_add3_u32 v16, v104, v19, 1                               // 00000000B7C4: D1FF0010 02062768
	v_cndmask_b32_e64 v4, v16, v18, s[46:47]                   // 00000000B7CC: D1000004 00BA2510
	v_cmp_u_f32_e64 s[46:47], v105, v105                       // 00000000B7D4: D048002E 0002D369
	v_add3_u32 v16, v105, v19, 1                               // 00000000B7DC: D1FF0010 02062769
	v_cndmask_b32_e64 v5, v16, v18, s[46:47]                   // 00000000B7E4: D1000005 00BA2510
	v_perm_b32 v92, v5, v4, s52                                // 00000000B7EC: D1ED005C 00D20905
	v_cmp_u_f32_e64 s[46:47], v106, v106                       // 00000000B7F4: D048002E 0002D56A
	v_add3_u32 v16, v106, v19, 1                               // 00000000B7FC: D1FF0010 0206276A
	v_cndmask_b32_e64 v4, v16, v18, s[46:47]                   // 00000000B804: D1000004 00BA2510
	v_cmp_u_f32_e64 s[46:47], v107, v107                       // 00000000B80C: D048002E 0002D76B
	v_add3_u32 v16, v107, v19, 1                               // 00000000B814: D1FF0010 0206276B
	v_cndmask_b32_e64 v5, v16, v18, s[46:47]                   // 00000000B81C: D1000005 00BA2510
	v_perm_b32 v93, v5, v4, s52                                // 00000000B824: D1ED005D 00D20905
	v_cmp_u_f32_e64 s[46:47], v108, v108                       // 00000000B82C: D048002E 0002D96C
	v_add3_u32 v16, v108, v19, 1                               // 00000000B834: D1FF0010 0206276C
	v_cndmask_b32_e64 v4, v16, v18, s[46:47]                   // 00000000B83C: D1000004 00BA2510
	v_cmp_u_f32_e64 s[46:47], v109, v109                       // 00000000B844: D048002E 0002DB6D
	v_add3_u32 v16, v109, v19, 1                               // 00000000B84C: D1FF0010 0206276D
	v_cndmask_b32_e64 v5, v16, v18, s[46:47]                   // 00000000B854: D1000005 00BA2510
	v_perm_b32 v94, v5, v4, s52                                // 00000000B85C: D1ED005E 00D20905
	v_cmp_u_f32_e64 s[46:47], v110, v110                       // 00000000B864: D048002E 0002DD6E
	v_add3_u32 v16, v110, v19, 1                               // 00000000B86C: D1FF0010 0206276E
	v_cndmask_b32_e64 v4, v16, v18, s[46:47]                   // 00000000B874: D1000004 00BA2510
	v_cmp_u_f32_e64 s[46:47], v111, v111                       // 00000000B87C: D048002E 0002DF6F
	v_add3_u32 v16, v111, v19, 1                               // 00000000B884: D1FF0010 0206276F
	v_cndmask_b32_e64 v5, v16, v18, s[46:47]                   // 00000000B88C: D1000005 00BA2510
	v_perm_b32 v95, v5, v4, s52                                // 00000000B894: D1ED005F 00D20905
	v_cmp_u_f32_e64 s[46:47], v112, v112                       // 00000000B89C: D048002E 0002E170
	v_add3_u32 v16, v112, v19, 1                               // 00000000B8A4: D1FF0010 02062770
	v_cndmask_b32_e64 v4, v16, v18, s[46:47]                   // 00000000B8AC: D1000004 00BA2510
	v_cmp_u_f32_e64 s[46:47], v113, v113                       // 00000000B8B4: D048002E 0002E371
	v_add3_u32 v16, v113, v19, 1                               // 00000000B8BC: D1FF0010 02062771
	v_cndmask_b32_e64 v5, v16, v18, s[46:47]                   // 00000000B8C4: D1000005 00BA2510
	v_perm_b32 v96, v5, v4, s52                                // 00000000B8CC: D1ED0060 00D20905
	v_cmp_u_f32_e64 s[46:47], v114, v114                       // 00000000B8D4: D048002E 0002E572
	v_add3_u32 v16, v114, v19, 1                               // 00000000B8DC: D1FF0010 02062772
	v_cndmask_b32_e64 v4, v16, v18, s[46:47]                   // 00000000B8E4: D1000004 00BA2510
	v_cmp_u_f32_e64 s[46:47], v115, v115                       // 00000000B8EC: D048002E 0002E773
	v_add3_u32 v16, v115, v19, 1                               // 00000000B8F4: D1FF0010 02062773
	v_cndmask_b32_e64 v5, v16, v18, s[46:47]                   // 00000000B8FC: D1000005 00BA2510
	v_perm_b32 v97, v5, v4, s52                                // 00000000B904: D1ED0061 00D20905
	v_cmp_u_f32_e64 s[46:47], v116, v116                       // 00000000B90C: D048002E 0002E974
	v_add3_u32 v16, v116, v19, 1                               // 00000000B914: D1FF0010 02062774
	v_cndmask_b32_e64 v4, v16, v18, s[46:47]                   // 00000000B91C: D1000004 00BA2510
	v_cmp_u_f32_e64 s[46:47], v117, v117                       // 00000000B924: D048002E 0002EB75
	v_add3_u32 v16, v117, v19, 1                               // 00000000B92C: D1FF0010 02062775
	v_cndmask_b32_e64 v5, v16, v18, s[46:47]                   // 00000000B934: D1000005 00BA2510
	v_perm_b32 v98, v5, v4, s52                                // 00000000B93C: D1ED0062 00D20905
	v_cmp_u_f32_e64 s[46:47], v118, v118                       // 00000000B944: D048002E 0002ED76
	v_add3_u32 v16, v118, v19, 1                               // 00000000B94C: D1FF0010 02062776
	v_cndmask_b32_e64 v4, v16, v18, s[46:47]                   // 00000000B954: D1000004 00BA2510
	v_cmp_u_f32_e64 s[46:47], v119, v119                       // 00000000B95C: D048002E 0002EF77
	v_add3_u32 v16, v119, v19, 1                               // 00000000B964: D1FF0010 02062777
	v_cndmask_b32_e64 v5, v16, v18, s[46:47]                   // 00000000B96C: D1000005 00BA2510
	v_perm_b32 v99, v5, v4, s52                                // 00000000B974: D1ED0063 00D20905
	v_cmp_u_f32_e64 s[46:47], v120, v120                       // 00000000B97C: D048002E 0002F178
	v_add3_u32 v16, v120, v19, 1                               // 00000000B984: D1FF0010 02062778
	v_cndmask_b32_e64 v4, v16, v18, s[46:47]                   // 00000000B98C: D1000004 00BA2510
	v_cmp_u_f32_e64 s[46:47], v121, v121                       // 00000000B994: D048002E 0002F379
	v_add3_u32 v16, v121, v19, 1                               // 00000000B99C: D1FF0010 02062779
	v_cndmask_b32_e64 v5, v16, v18, s[46:47]                   // 00000000B9A4: D1000005 00BA2510
	v_perm_b32 v100, v5, v4, s52                               // 00000000B9AC: D1ED0064 00D20905
	v_cmp_u_f32_e64 s[46:47], v122, v122                       // 00000000B9B4: D048002E 0002F57A
	v_add3_u32 v16, v122, v19, 1                               // 00000000B9BC: D1FF0010 0206277A
	v_cndmask_b32_e64 v4, v16, v18, s[46:47]                   // 00000000B9C4: D1000004 00BA2510
	v_cmp_u_f32_e64 s[46:47], v123, v123                       // 00000000B9CC: D048002E 0002F77B
	v_add3_u32 v16, v123, v19, 1                               // 00000000B9D4: D1FF0010 0206277B
	v_cndmask_b32_e64 v5, v16, v18, s[46:47]                   // 00000000B9DC: D1000005 00BA2510
	v_perm_b32 v101, v5, v4, s52                               // 00000000B9E4: D1ED0065 00D20905
	v_cmp_u_f32_e64 s[46:47], v124, v124                       // 00000000B9EC: D048002E 0002F97C
	v_add3_u32 v16, v124, v19, 1                               // 00000000B9F4: D1FF0010 0206277C
	v_cndmask_b32_e64 v4, v16, v18, s[46:47]                   // 00000000B9FC: D1000004 00BA2510
	v_cmp_u_f32_e64 s[46:47], v125, v125                       // 00000000BA04: D048002E 0002FB7D
	v_add3_u32 v16, v125, v19, 1                               // 00000000BA0C: D1FF0010 0206277D
	v_cndmask_b32_e64 v5, v16, v18, s[46:47]                   // 00000000BA14: D1000005 00BA2510
	v_perm_b32 v102, v5, v4, s52                               // 00000000BA1C: D1ED0066 00D20905
	v_cmp_u_f32_e64 s[46:47], v126, v126                       // 00000000BA24: D048002E 0002FD7E
	v_add3_u32 v16, v126, v19, 1                               // 00000000BA2C: D1FF0010 0206277E
	v_cndmask_b32_e64 v4, v16, v18, s[46:47]                   // 00000000BA34: D1000004 00BA2510
	v_cmp_u_f32_e64 s[46:47], v127, v127                       // 00000000BA3C: D048002E 0002FF7F
	v_add3_u32 v16, v127, v19, 1                               // 00000000BA44: D1FF0010 0206277F
	v_cndmask_b32_e64 v5, v16, v18, s[46:47]                   // 00000000BA4C: D1000005 00BA2510
	v_perm_b32 v103, v5, v4, s52                               // 00000000BA54: D1ED0067 00D20905
	v_cmp_u_f32_e64 s[46:47], v128, v128                       // 00000000BA5C: D048002E 00030180
	v_add3_u32 v16, v128, v19, 1                               // 00000000BA64: D1FF0010 02062780
	v_cndmask_b32_e64 v4, v16, v18, s[46:47]                   // 00000000BA6C: D1000004 00BA2510
	v_cmp_u_f32_e64 s[46:47], v129, v129                       // 00000000BA74: D048002E 00030381
	v_add3_u32 v16, v129, v19, 1                               // 00000000BA7C: D1FF0010 02062781
	v_cndmask_b32_e64 v5, v16, v18, s[46:47]                   // 00000000BA84: D1000005 00BA2510
	v_perm_b32 v104, v5, v4, s52                               // 00000000BA8C: D1ED0068 00D20905
	v_cmp_u_f32_e64 s[46:47], v130, v130                       // 00000000BA94: D048002E 00030582
	v_add3_u32 v16, v130, v19, 1                               // 00000000BA9C: D1FF0010 02062782
	v_cndmask_b32_e64 v4, v16, v18, s[46:47]                   // 00000000BAA4: D1000004 00BA2510
	v_cmp_u_f32_e64 s[46:47], v131, v131                       // 00000000BAAC: D048002E 00030783
	v_add3_u32 v16, v131, v19, 1                               // 00000000BAB4: D1FF0010 02062783
	v_cndmask_b32_e64 v5, v16, v18, s[46:47]                   // 00000000BABC: D1000005 00BA2510
	v_perm_b32 v105, v5, v4, s52                               // 00000000BAC4: D1ED0069 00D20905
	v_cmp_u_f32_e64 s[46:47], v132, v132                       // 00000000BACC: D048002E 00030984
	v_add3_u32 v16, v132, v19, 1                               // 00000000BAD4: D1FF0010 02062784
	v_cndmask_b32_e64 v4, v16, v18, s[46:47]                   // 00000000BADC: D1000004 00BA2510
	v_cmp_u_f32_e64 s[46:47], v133, v133                       // 00000000BAE4: D048002E 00030B85
	v_add3_u32 v16, v133, v19, 1                               // 00000000BAEC: D1FF0010 02062785
	v_cndmask_b32_e64 v5, v16, v18, s[46:47]                   // 00000000BAF4: D1000005 00BA2510
	v_perm_b32 v106, v5, v4, s52                               // 00000000BAFC: D1ED006A 00D20905
	v_cmp_u_f32_e64 s[46:47], v134, v134                       // 00000000BB04: D048002E 00030D86
	v_add3_u32 v16, v134, v19, 1                               // 00000000BB0C: D1FF0010 02062786
	v_cndmask_b32_e64 v4, v16, v18, s[46:47]                   // 00000000BB14: D1000004 00BA2510
	v_cmp_u_f32_e64 s[46:47], v135, v135                       // 00000000BB1C: D048002E 00030F87
	v_add3_u32 v16, v135, v19, 1                               // 00000000BB24: D1FF0010 02062787
	v_cndmask_b32_e64 v5, v16, v18, s[46:47]                   // 00000000BB2C: D1000005 00BA2510
	v_perm_b32 v107, v5, v4, s52                               // 00000000BB34: D1ED006B 00D20905
	v_cmp_u_f32_e64 s[46:47], v136, v136                       // 00000000BB3C: D048002E 00031188
	v_add3_u32 v16, v136, v19, 1                               // 00000000BB44: D1FF0010 02062788
	v_cndmask_b32_e64 v4, v16, v18, s[46:47]                   // 00000000BB4C: D1000004 00BA2510
	v_cmp_u_f32_e64 s[46:47], v137, v137                       // 00000000BB54: D048002E 00031389
	v_add3_u32 v16, v137, v19, 1                               // 00000000BB5C: D1FF0010 02062789
	v_cndmask_b32_e64 v5, v16, v18, s[46:47]                   // 00000000BB64: D1000005 00BA2510
	v_perm_b32 v108, v5, v4, s52                               // 00000000BB6C: D1ED006C 00D20905
	v_cmp_u_f32_e64 s[46:47], v138, v138                       // 00000000BB74: D048002E 0003158A
	v_add3_u32 v16, v138, v19, 1                               // 00000000BB7C: D1FF0010 0206278A
	v_cndmask_b32_e64 v4, v16, v18, s[46:47]                   // 00000000BB84: D1000004 00BA2510
	v_cmp_u_f32_e64 s[46:47], v139, v139                       // 00000000BB8C: D048002E 0003178B
	v_add3_u32 v16, v139, v19, 1                               // 00000000BB94: D1FF0010 0206278B
	v_cndmask_b32_e64 v5, v16, v18, s[46:47]                   // 00000000BB9C: D1000005 00BA2510
	v_perm_b32 v109, v5, v4, s52                               // 00000000BBA4: D1ED006D 00D20905
	v_cmp_u_f32_e64 s[46:47], v140, v140                       // 00000000BBAC: D048002E 0003198C
	v_add3_u32 v16, v140, v19, 1                               // 00000000BBB4: D1FF0010 0206278C
	v_cndmask_b32_e64 v4, v16, v18, s[46:47]                   // 00000000BBBC: D1000004 00BA2510
	v_cmp_u_f32_e64 s[46:47], v141, v141                       // 00000000BBC4: D048002E 00031B8D
	v_add3_u32 v16, v141, v19, 1                               // 00000000BBCC: D1FF0010 0206278D
	v_cndmask_b32_e64 v5, v16, v18, s[46:47]                   // 00000000BBD4: D1000005 00BA2510
	v_perm_b32 v110, v5, v4, s52                               // 00000000BBDC: D1ED006E 00D20905
	v_cmp_u_f32_e64 s[46:47], v142, v142                       // 00000000BBE4: D048002E 00031D8E
	v_add3_u32 v16, v142, v19, 1                               // 00000000BBEC: D1FF0010 0206278E
	v_cndmask_b32_e64 v4, v16, v18, s[46:47]                   // 00000000BBF4: D1000004 00BA2510
	v_cmp_u_f32_e64 s[46:47], v143, v143                       // 00000000BBFC: D048002E 00031F8F
	v_add3_u32 v16, v143, v19, 1                               // 00000000BC04: D1FF0010 0206278F
	v_cndmask_b32_e64 v5, v16, v18, s[46:47]                   // 00000000BC0C: D1000005 00BA2510
	v_perm_b32 v111, v5, v4, s52                               // 00000000BC14: D1ED006F 00D20905
	ds_write_b64 v20, v[80:81]                                 // 00000000BC1C: D89A0000 00005014
	ds_write_b64 v20, v[82:83] offset:4352                     // 00000000BC24: D89A1100 00005214
	ds_write_b64 v20, v[84:85] offset:8704                     // 00000000BC2C: D89A2200 00005414
	ds_write_b64 v20, v[86:87] offset:13056                    // 00000000BC34: D89A3300 00005614
	ds_write_b64 v20, v[88:89] offset:17408                    // 00000000BC3C: D89A4400 00005814
	ds_write_b64 v20, v[90:91] offset:21760                    // 00000000BC44: D89A5500 00005A14
	ds_write_b64 v20, v[92:93] offset:26112                    // 00000000BC4C: D89A6600 00005C14
	ds_write_b64 v20, v[94:95] offset:30464                    // 00000000BC54: D89A7700 00005E14
	ds_write_b64 v20, v[96:97] offset:2176                     // 00000000BC5C: D89A0880 00006014
	ds_write_b64 v20, v[98:99] offset:6528                     // 00000000BC64: D89A1980 00006214
	ds_write_b64 v20, v[100:101] offset:10880                  // 00000000BC6C: D89A2A80 00006414
	ds_write_b64 v20, v[102:103] offset:15232                  // 00000000BC74: D89A3B80 00006614
	ds_write_b64 v20, v[104:105] offset:19584                  // 00000000BC7C: D89A4C80 00006814
	ds_write_b64 v20, v[106:107] offset:23936                  // 00000000BC84: D89A5D80 00006A14
	ds_write_b64 v20, v[108:109] offset:28288                  // 00000000BC8C: D89A6E80 00006C14
	ds_write_b64 v20, v[110:111] offset:32640                  // 00000000BC94: D89A7F80 00006E14
	v_lshrrev_b32_e32 v4, 5, v0                                // 00000000BC9C: 20080085
	v_xor_b32_e32 v5, 1, v4                                    // 00000000BCA0: 2A0A0881
	s_mul_i32 s60, s65, 2                                      // 00000000BCA4: 923C8241
	s_cmp_eq_u32 s88, 0                                        // 00000000BCA8: BF068058
	s_cselect_b32 s61, 1, 4                                    // 00000000BCAC: 853D8481
	s_mul_i32 s60, s61, s60                                    // 00000000BCB0: 923C3C3D
	v_readlane_b32 s82, v3, 0                                  // 00000000BCB4: D2890052 00010103
	s_lshr_b32 s61, s82, 24                                    // 00000000BCBC: 8F3D9852
	s_and_b32 s82, s82, 0xffffff                               // 00000000BCC0: 8652FF52 00FFFFFF
	s_mul_i32 s82, s82, s71                                    // 00000000BCC8: 92524752
	s_mul_i32 s61, s60, s61                                    // 00000000BCCC: 923D3D3C
	s_add_u32 s82, s82, s61                                    // 00000000BCD0: 80523D52
	v_mul_lo_u32 v6, v5, s82                                   // 00000000BCD4: D2850006 0000A505
	v_readlane_b32 s82, v3, 1                                  // 00000000BCDC: D2890052 00010303
	s_lshr_b32 s61, s82, 24                                    // 00000000BCE4: 8F3D9852
	s_and_b32 s82, s82, 0xffffff                               // 00000000BCE8: 8652FF52 00FFFFFF
	s_mul_i32 s82, s82, s71                                    // 00000000BCF0: 92524752
	s_mul_i32 s61, s60, s61                                    // 00000000BCF4: 923D3D3C
	s_add_u32 s82, s82, s61                                    // 00000000BCF8: 80523D52
	v_mul_lo_u32 v7, v4, s82                                   // 00000000BCFC: D2850007 0000A504
	v_add_u32_e32 v60, v6, v7                                  // 00000000BD04: 68780F06
	v_readlane_b32 s82, v3, 2                                  // 00000000BD08: D2890052 00010503
	s_lshr_b32 s61, s82, 24                                    // 00000000BD10: 8F3D9852
	s_and_b32 s82, s82, 0xffffff                               // 00000000BD14: 8652FF52 00FFFFFF
	s_mul_i32 s82, s82, s71                                    // 00000000BD1C: 92524752
	s_mul_i32 s61, s60, s61                                    // 00000000BD20: 923D3D3C
	s_add_u32 s82, s82, s61                                    // 00000000BD24: 80523D52
	v_mul_lo_u32 v6, v5, s82                                   // 00000000BD28: D2850006 0000A505
	v_readlane_b32 s82, v3, 3                                  // 00000000BD30: D2890052 00010703
	s_lshr_b32 s61, s82, 24                                    // 00000000BD38: 8F3D9852
	s_and_b32 s82, s82, 0xffffff                               // 00000000BD3C: 8652FF52 00FFFFFF
	s_mul_i32 s82, s82, s71                                    // 00000000BD44: 92524752
	s_mul_i32 s61, s60, s61                                    // 00000000BD48: 923D3D3C
	s_add_u32 s82, s82, s61                                    // 00000000BD4C: 80523D52
	v_mul_lo_u32 v7, v4, s82                                   // 00000000BD50: D2850007 0000A504
	v_add_u32_e32 v61, v6, v7                                  // 00000000BD58: 687A0F06
	v_readlane_b32 s82, v3, 4                                  // 00000000BD5C: D2890052 00010903
	s_lshr_b32 s61, s82, 24                                    // 00000000BD64: 8F3D9852
	s_and_b32 s82, s82, 0xffffff                               // 00000000BD68: 8652FF52 00FFFFFF
	s_mul_i32 s82, s82, s71                                    // 00000000BD70: 92524752
	s_mul_i32 s61, s60, s61                                    // 00000000BD74: 923D3D3C
	s_add_u32 s82, s82, s61                                    // 00000000BD78: 80523D52
	v_mul_lo_u32 v6, v5, s82                                   // 00000000BD7C: D2850006 0000A505
	v_readlane_b32 s82, v3, 5                                  // 00000000BD84: D2890052 00010B03
	s_lshr_b32 s61, s82, 24                                    // 00000000BD8C: 8F3D9852
	s_and_b32 s82, s82, 0xffffff                               // 00000000BD90: 8652FF52 00FFFFFF
	s_mul_i32 s82, s82, s71                                    // 00000000BD98: 92524752
	s_mul_i32 s61, s60, s61                                    // 00000000BD9C: 923D3D3C
	s_add_u32 s82, s82, s61                                    // 00000000BDA0: 80523D52
	v_mul_lo_u32 v7, v4, s82                                   // 00000000BDA4: D2850007 0000A504
	v_add_u32_e32 v62, v6, v7                                  // 00000000BDAC: 687C0F06
	v_readlane_b32 s82, v3, 6                                  // 00000000BDB0: D2890052 00010D03
	s_lshr_b32 s61, s82, 24                                    // 00000000BDB8: 8F3D9852
	s_and_b32 s82, s82, 0xffffff                               // 00000000BDBC: 8652FF52 00FFFFFF
	s_mul_i32 s82, s82, s71                                    // 00000000BDC4: 92524752
	s_mul_i32 s61, s60, s61                                    // 00000000BDC8: 923D3D3C
	s_add_u32 s82, s82, s61                                    // 00000000BDCC: 80523D52
	v_mul_lo_u32 v6, v5, s82                                   // 00000000BDD0: D2850006 0000A505
	v_readlane_b32 s82, v3, 7                                  // 00000000BDD8: D2890052 00010F03
	s_lshr_b32 s61, s82, 24                                    // 00000000BDE0: 8F3D9852
	s_and_b32 s82, s82, 0xffffff                               // 00000000BDE4: 8652FF52 00FFFFFF
	s_mul_i32 s82, s82, s71                                    // 00000000BDEC: 92524752
	s_mul_i32 s61, s60, s61                                    // 00000000BDF0: 923D3D3C
	s_add_u32 s82, s82, s61                                    // 00000000BDF4: 80523D52
	v_mul_lo_u32 v7, v4, s82                                   // 00000000BDF8: D2850007 0000A504
	v_add_u32_e32 v63, v6, v7                                  // 00000000BE00: 687E0F06
	v_readlane_b32 s82, v3, 8                                  // 00000000BE04: D2890052 00011103
	s_lshr_b32 s61, s82, 24                                    // 00000000BE0C: 8F3D9852
	s_and_b32 s82, s82, 0xffffff                               // 00000000BE10: 8652FF52 00FFFFFF
	s_mul_i32 s82, s82, s71                                    // 00000000BE18: 92524752
	s_mul_i32 s61, s60, s61                                    // 00000000BE1C: 923D3D3C
	s_add_u32 s82, s82, s61                                    // 00000000BE20: 80523D52
	v_mul_lo_u32 v6, v5, s82                                   // 00000000BE24: D2850006 0000A505
	v_readlane_b32 s82, v3, 9                                  // 00000000BE2C: D2890052 00011303
	s_lshr_b32 s61, s82, 24                                    // 00000000BE34: 8F3D9852
	s_and_b32 s82, s82, 0xffffff                               // 00000000BE38: 8652FF52 00FFFFFF
	s_mul_i32 s82, s82, s71                                    // 00000000BE40: 92524752
	s_mul_i32 s61, s60, s61                                    // 00000000BE44: 923D3D3C
	s_add_u32 s82, s82, s61                                    // 00000000BE48: 80523D52
	v_mul_lo_u32 v7, v4, s82                                   // 00000000BE4C: D2850007 0000A504
	v_add_u32_e32 v64, v6, v7                                  // 00000000BE54: 68800F06
	v_readlane_b32 s82, v3, 10                                 // 00000000BE58: D2890052 00011503
	s_lshr_b32 s61, s82, 24                                    // 00000000BE60: 8F3D9852
	s_and_b32 s82, s82, 0xffffff                               // 00000000BE64: 8652FF52 00FFFFFF
	s_mul_i32 s82, s82, s71                                    // 00000000BE6C: 92524752
	s_mul_i32 s61, s60, s61                                    // 00000000BE70: 923D3D3C
	s_add_u32 s82, s82, s61                                    // 00000000BE74: 80523D52
	v_mul_lo_u32 v6, v5, s82                                   // 00000000BE78: D2850006 0000A505
	v_readlane_b32 s82, v3, 11                                 // 00000000BE80: D2890052 00011703
	s_lshr_b32 s61, s82, 24                                    // 00000000BE88: 8F3D9852
	s_and_b32 s82, s82, 0xffffff                               // 00000000BE8C: 8652FF52 00FFFFFF
	s_mul_i32 s82, s82, s71                                    // 00000000BE94: 92524752
	s_mul_i32 s61, s60, s61                                    // 00000000BE98: 923D3D3C
	s_add_u32 s82, s82, s61                                    // 00000000BE9C: 80523D52
	v_mul_lo_u32 v7, v4, s82                                   // 00000000BEA0: D2850007 0000A504
	v_add_u32_e32 v65, v6, v7                                  // 00000000BEA8: 68820F06
	v_readlane_b32 s82, v3, 12                                 // 00000000BEAC: D2890052 00011903
	s_lshr_b32 s61, s82, 24                                    // 00000000BEB4: 8F3D9852
	s_and_b32 s82, s82, 0xffffff                               // 00000000BEB8: 8652FF52 00FFFFFF
	s_mul_i32 s82, s82, s71                                    // 00000000BEC0: 92524752
	s_mul_i32 s61, s60, s61                                    // 00000000BEC4: 923D3D3C
	s_add_u32 s82, s82, s61                                    // 00000000BEC8: 80523D52
	v_mul_lo_u32 v6, v5, s82                                   // 00000000BECC: D2850006 0000A505
	v_readlane_b32 s82, v3, 13                                 // 00000000BED4: D2890052 00011B03
	s_lshr_b32 s61, s82, 24                                    // 00000000BEDC: 8F3D9852
	s_and_b32 s82, s82, 0xffffff                               // 00000000BEE0: 8652FF52 00FFFFFF
	s_mul_i32 s82, s82, s71                                    // 00000000BEE8: 92524752
	s_mul_i32 s61, s60, s61                                    // 00000000BEEC: 923D3D3C
	s_add_u32 s82, s82, s61                                    // 00000000BEF0: 80523D52
	v_mul_lo_u32 v7, v4, s82                                   // 00000000BEF4: D2850007 0000A504
	v_add_u32_e32 v66, v6, v7                                  // 00000000BEFC: 68840F06
	v_readlane_b32 s82, v3, 14                                 // 00000000BF00: D2890052 00011D03
	s_lshr_b32 s61, s82, 24                                    // 00000000BF08: 8F3D9852
	s_and_b32 s82, s82, 0xffffff                               // 00000000BF0C: 8652FF52 00FFFFFF
	s_mul_i32 s82, s82, s71                                    // 00000000BF14: 92524752
	s_mul_i32 s61, s60, s61                                    // 00000000BF18: 923D3D3C
	s_add_u32 s82, s82, s61                                    // 00000000BF1C: 80523D52
	v_mul_lo_u32 v6, v5, s82                                   // 00000000BF20: D2850006 0000A505
	v_readlane_b32 s82, v3, 15                                 // 00000000BF28: D2890052 00011F03
	s_lshr_b32 s61, s82, 24                                    // 00000000BF30: 8F3D9852
	s_and_b32 s82, s82, 0xffffff                               // 00000000BF34: 8652FF52 00FFFFFF
	s_mul_i32 s82, s82, s71                                    // 00000000BF3C: 92524752
	s_mul_i32 s61, s60, s61                                    // 00000000BF40: 923D3D3C
	s_add_u32 s82, s82, s61                                    // 00000000BF44: 80523D52
	v_mul_lo_u32 v7, v4, s82                                   // 00000000BF48: D2850007 0000A504
	v_add_u32_e32 v67, v6, v7                                  // 00000000BF50: 68860F06
	v_readlane_b32 s82, v3, 16                                 // 00000000BF54: D2890052 00012103
	s_lshr_b32 s61, s82, 24                                    // 00000000BF5C: 8F3D9852
	s_and_b32 s82, s82, 0xffffff                               // 00000000BF60: 8652FF52 00FFFFFF
	s_mul_i32 s82, s82, s71                                    // 00000000BF68: 92524752
	s_mul_i32 s61, s60, s61                                    // 00000000BF6C: 923D3D3C
	s_add_u32 s82, s82, s61                                    // 00000000BF70: 80523D52
	v_mul_lo_u32 v6, v5, s82                                   // 00000000BF74: D2850006 0000A505
	v_readlane_b32 s82, v3, 17                                 // 00000000BF7C: D2890052 00012303
	s_lshr_b32 s61, s82, 24                                    // 00000000BF84: 8F3D9852
	s_and_b32 s82, s82, 0xffffff                               // 00000000BF88: 8652FF52 00FFFFFF
	s_mul_i32 s82, s82, s71                                    // 00000000BF90: 92524752
	s_mul_i32 s61, s60, s61                                    // 00000000BF94: 923D3D3C
	s_add_u32 s82, s82, s61                                    // 00000000BF98: 80523D52
	v_mul_lo_u32 v7, v4, s82                                   // 00000000BF9C: D2850007 0000A504
	v_add_u32_e32 v68, v6, v7                                  // 00000000BFA4: 68880F06
	v_readlane_b32 s82, v3, 18                                 // 00000000BFA8: D2890052 00012503
	s_lshr_b32 s61, s82, 24                                    // 00000000BFB0: 8F3D9852
	s_and_b32 s82, s82, 0xffffff                               // 00000000BFB4: 8652FF52 00FFFFFF
	s_mul_i32 s82, s82, s71                                    // 00000000BFBC: 92524752
	s_mul_i32 s61, s60, s61                                    // 00000000BFC0: 923D3D3C
	s_add_u32 s82, s82, s61                                    // 00000000BFC4: 80523D52
	v_mul_lo_u32 v6, v5, s82                                   // 00000000BFC8: D2850006 0000A505
	v_readlane_b32 s82, v3, 19                                 // 00000000BFD0: D2890052 00012703
	s_lshr_b32 s61, s82, 24                                    // 00000000BFD8: 8F3D9852
	s_and_b32 s82, s82, 0xffffff                               // 00000000BFDC: 8652FF52 00FFFFFF
	s_mul_i32 s82, s82, s71                                    // 00000000BFE4: 92524752
	s_mul_i32 s61, s60, s61                                    // 00000000BFE8: 923D3D3C
	s_add_u32 s82, s82, s61                                    // 00000000BFEC: 80523D52
	v_mul_lo_u32 v7, v4, s82                                   // 00000000BFF0: D2850007 0000A504
	v_add_u32_e32 v69, v6, v7                                  // 00000000BFF8: 688A0F06
	v_readlane_b32 s82, v3, 20                                 // 00000000BFFC: D2890052 00012903
	s_lshr_b32 s61, s82, 24                                    // 00000000C004: 8F3D9852
	s_and_b32 s82, s82, 0xffffff                               // 00000000C008: 8652FF52 00FFFFFF
	s_mul_i32 s82, s82, s71                                    // 00000000C010: 92524752
	s_mul_i32 s61, s60, s61                                    // 00000000C014: 923D3D3C
	s_add_u32 s82, s82, s61                                    // 00000000C018: 80523D52
	v_mul_lo_u32 v6, v5, s82                                   // 00000000C01C: D2850006 0000A505
	v_readlane_b32 s82, v3, 21                                 // 00000000C024: D2890052 00012B03
	s_lshr_b32 s61, s82, 24                                    // 00000000C02C: 8F3D9852
	s_and_b32 s82, s82, 0xffffff                               // 00000000C030: 8652FF52 00FFFFFF
	s_mul_i32 s82, s82, s71                                    // 00000000C038: 92524752
	s_mul_i32 s61, s60, s61                                    // 00000000C03C: 923D3D3C
	s_add_u32 s82, s82, s61                                    // 00000000C040: 80523D52
	v_mul_lo_u32 v7, v4, s82                                   // 00000000C044: D2850007 0000A504
	v_add_u32_e32 v70, v6, v7                                  // 00000000C04C: 688C0F06
	v_readlane_b32 s82, v3, 22                                 // 00000000C050: D2890052 00012D03
	s_lshr_b32 s61, s82, 24                                    // 00000000C058: 8F3D9852
	s_and_b32 s82, s82, 0xffffff                               // 00000000C05C: 8652FF52 00FFFFFF
	s_mul_i32 s82, s82, s71                                    // 00000000C064: 92524752
	s_mul_i32 s61, s60, s61                                    // 00000000C068: 923D3D3C
	s_add_u32 s82, s82, s61                                    // 00000000C06C: 80523D52
	v_mul_lo_u32 v6, v5, s82                                   // 00000000C070: D2850006 0000A505
	v_readlane_b32 s82, v3, 23                                 // 00000000C078: D2890052 00012F03
	s_lshr_b32 s61, s82, 24                                    // 00000000C080: 8F3D9852
	s_and_b32 s82, s82, 0xffffff                               // 00000000C084: 8652FF52 00FFFFFF
	s_mul_i32 s82, s82, s71                                    // 00000000C08C: 92524752
	s_mul_i32 s61, s60, s61                                    // 00000000C090: 923D3D3C
	s_add_u32 s82, s82, s61                                    // 00000000C094: 80523D52
	v_mul_lo_u32 v7, v4, s82                                   // 00000000C098: D2850007 0000A504
	v_add_u32_e32 v71, v6, v7                                  // 00000000C0A0: 688E0F06
	v_readlane_b32 s82, v3, 24                                 // 00000000C0A4: D2890052 00013103
	s_lshr_b32 s61, s82, 24                                    // 00000000C0AC: 8F3D9852
	s_and_b32 s82, s82, 0xffffff                               // 00000000C0B0: 8652FF52 00FFFFFF
	s_mul_i32 s82, s82, s71                                    // 00000000C0B8: 92524752
	s_mul_i32 s61, s60, s61                                    // 00000000C0BC: 923D3D3C
	s_add_u32 s82, s82, s61                                    // 00000000C0C0: 80523D52
	v_mul_lo_u32 v6, v5, s82                                   // 00000000C0C4: D2850006 0000A505
	v_readlane_b32 s82, v3, 25                                 // 00000000C0CC: D2890052 00013303
	s_lshr_b32 s61, s82, 24                                    // 00000000C0D4: 8F3D9852
	s_and_b32 s82, s82, 0xffffff                               // 00000000C0D8: 8652FF52 00FFFFFF
	s_mul_i32 s82, s82, s71                                    // 00000000C0E0: 92524752
	s_mul_i32 s61, s60, s61                                    // 00000000C0E4: 923D3D3C
	s_add_u32 s82, s82, s61                                    // 00000000C0E8: 80523D52
	v_mul_lo_u32 v7, v4, s82                                   // 00000000C0EC: D2850007 0000A504
	v_add_u32_e32 v72, v6, v7                                  // 00000000C0F4: 68900F06
	v_readlane_b32 s82, v3, 26                                 // 00000000C0F8: D2890052 00013503
	s_lshr_b32 s61, s82, 24                                    // 00000000C100: 8F3D9852
	s_and_b32 s82, s82, 0xffffff                               // 00000000C104: 8652FF52 00FFFFFF
	s_mul_i32 s82, s82, s71                                    // 00000000C10C: 92524752
	s_mul_i32 s61, s60, s61                                    // 00000000C110: 923D3D3C
	s_add_u32 s82, s82, s61                                    // 00000000C114: 80523D52
	v_mul_lo_u32 v6, v5, s82                                   // 00000000C118: D2850006 0000A505
	v_readlane_b32 s82, v3, 27                                 // 00000000C120: D2890052 00013703
	s_lshr_b32 s61, s82, 24                                    // 00000000C128: 8F3D9852
	s_and_b32 s82, s82, 0xffffff                               // 00000000C12C: 8652FF52 00FFFFFF
	s_mul_i32 s82, s82, s71                                    // 00000000C134: 92524752
	s_mul_i32 s61, s60, s61                                    // 00000000C138: 923D3D3C
	s_add_u32 s82, s82, s61                                    // 00000000C13C: 80523D52
	v_mul_lo_u32 v7, v4, s82                                   // 00000000C140: D2850007 0000A504
	v_add_u32_e32 v73, v6, v7                                  // 00000000C148: 68920F06
	v_readlane_b32 s82, v3, 28                                 // 00000000C14C: D2890052 00013903
	s_lshr_b32 s61, s82, 24                                    // 00000000C154: 8F3D9852
	s_and_b32 s82, s82, 0xffffff                               // 00000000C158: 8652FF52 00FFFFFF
	s_mul_i32 s82, s82, s71                                    // 00000000C160: 92524752
	s_mul_i32 s61, s60, s61                                    // 00000000C164: 923D3D3C
	s_add_u32 s82, s82, s61                                    // 00000000C168: 80523D52
	v_mul_lo_u32 v6, v5, s82                                   // 00000000C16C: D2850006 0000A505
	v_readlane_b32 s82, v3, 29                                 // 00000000C174: D2890052 00013B03
	s_lshr_b32 s61, s82, 24                                    // 00000000C17C: 8F3D9852
	s_and_b32 s82, s82, 0xffffff                               // 00000000C180: 8652FF52 00FFFFFF
	s_mul_i32 s82, s82, s71                                    // 00000000C188: 92524752
	s_mul_i32 s61, s60, s61                                    // 00000000C18C: 923D3D3C
	s_add_u32 s82, s82, s61                                    // 00000000C190: 80523D52
	v_mul_lo_u32 v7, v4, s82                                   // 00000000C194: D2850007 0000A504
	v_add_u32_e32 v74, v6, v7                                  // 00000000C19C: 68940F06
	v_readlane_b32 s82, v3, 30                                 // 00000000C1A0: D2890052 00013D03
	s_lshr_b32 s61, s82, 24                                    // 00000000C1A8: 8F3D9852
	s_and_b32 s82, s82, 0xffffff                               // 00000000C1AC: 8652FF52 00FFFFFF
	s_mul_i32 s82, s82, s71                                    // 00000000C1B4: 92524752
	s_mul_i32 s61, s60, s61                                    // 00000000C1B8: 923D3D3C
	s_add_u32 s82, s82, s61                                    // 00000000C1BC: 80523D52
	v_mul_lo_u32 v6, v5, s82                                   // 00000000C1C0: D2850006 0000A505
	v_readlane_b32 s82, v3, 31                                 // 00000000C1C8: D2890052 00013F03
	s_lshr_b32 s61, s82, 24                                    // 00000000C1D0: 8F3D9852
	s_and_b32 s82, s82, 0xffffff                               // 00000000C1D4: 8652FF52 00FFFFFF
	s_mul_i32 s82, s82, s71                                    // 00000000C1DC: 92524752
	s_mul_i32 s61, s60, s61                                    // 00000000C1E0: 923D3D3C
	s_add_u32 s82, s82, s61                                    // 00000000C1E4: 80523D52
	v_mul_lo_u32 v7, v4, s82                                   // 00000000C1E8: D2850007 0000A504
	v_add_u32_e32 v75, v6, v7                                  // 00000000C1F0: 68960F06
	v_and_b32_e32 v4, 31, v0                                   // 00000000C1F4: 2608009F
	v_lshrrev_b32_e32 v4, 1, v4                                // 00000000C1F8: 20080881
	s_cmp_eq_u32 s88, 0                                        // 00000000C1FC: BF068058
	s_cselect_b32 s61, 2, 4                                    // 00000000C200: 853D8482
	v_mul_lo_u32 v4, v4, s61                                   // 00000000C204: D2850004 00007B04
	v_and_b32_e64 v5, v0, 1                                    // 00000000C20C: D1130005 00010300
	v_add_u32_e32 v4, v4, v5                                   // 00000000C214: 68080B04
	v_lshlrev_b32_e32 v4, 2, v4                                // 00000000C218: 24080882
	v_add_u32_e32 v60, v60, v4                                 // 00000000C21C: 6878093C
	v_add_u32_e32 v61, v61, v4                                 // 00000000C220: 687A093D
	v_add_u32_e32 v62, v62, v4                                 // 00000000C224: 687C093E
	v_add_u32_e32 v63, v63, v4                                 // 00000000C228: 687E093F
	v_add_u32_e32 v64, v64, v4                                 // 00000000C22C: 68800940
	v_add_u32_e32 v65, v65, v4                                 // 00000000C230: 68820941
	v_add_u32_e32 v66, v66, v4                                 // 00000000C234: 68840942
	v_add_u32_e32 v67, v67, v4                                 // 00000000C238: 68860943
	v_add_u32_e32 v68, v68, v4                                 // 00000000C23C: 68880944
	v_add_u32_e32 v69, v69, v4                                 // 00000000C240: 688A0945
	v_add_u32_e32 v70, v70, v4                                 // 00000000C244: 688C0946
	v_add_u32_e32 v71, v71, v4                                 // 00000000C248: 688E0947
	v_add_u32_e32 v72, v72, v4                                 // 00000000C24C: 68900948
	v_add_u32_e32 v73, v73, v4                                 // 00000000C250: 68920949
	v_add_u32_e32 v74, v74, v4                                 // 00000000C254: 6894094A
	v_add_u32_e32 v75, v75, v4                                 // 00000000C258: 6896094B
	s_waitcnt lgkmcnt(0)                                       // 00000000C25C: BF8CC07F
	s_barrier                                                  // 00000000C260: BF8A0000
	ds_read_b32 v80, v21                                       // 00000000C264: D86C0000 50000015
	ds_read_b32 v81, v21 offset:64                             // 00000000C26C: D86C0040 51000015
	ds_read_b32 v82, v21 offset:2176                           // 00000000C274: D86C0880 52000015
	ds_read_b32 v83, v21 offset:2240                           // 00000000C27C: D86C08C0 53000015
	ds_read_b32 v84, v21 offset:4352                           // 00000000C284: D86C1100 54000015
	ds_read_b32 v85, v21 offset:4416                           // 00000000C28C: D86C1140 55000015
	ds_read_b32 v86, v21 offset:6528                           // 00000000C294: D86C1980 56000015
	ds_read_b32 v87, v21 offset:6592                           // 00000000C29C: D86C19C0 57000015
	ds_read_b32 v88, v21 offset:8704                           // 00000000C2A4: D86C2200 58000015
	ds_read_b32 v89, v21 offset:8768                           // 00000000C2AC: D86C2240 59000015
	ds_read_b32 v90, v21 offset:10880                          // 00000000C2B4: D86C2A80 5A000015
	ds_read_b32 v91, v21 offset:10944                          // 00000000C2BC: D86C2AC0 5B000015
	ds_read_b32 v92, v21 offset:13056                          // 00000000C2C4: D86C3300 5C000015
	ds_read_b32 v93, v21 offset:13120                          // 00000000C2CC: D86C3340 5D000015
	ds_read_b32 v94, v21 offset:15232                          // 00000000C2D4: D86C3B80 5E000015
	ds_read_b32 v95, v21 offset:15296                          // 00000000C2DC: D86C3BC0 5F000015
	ds_read_b32 v96, v21 offset:17408                          // 00000000C2E4: D86C4400 60000015
	ds_read_b32 v97, v21 offset:17472                          // 00000000C2EC: D86C4440 61000015
	ds_read_b32 v98, v21 offset:19584                          // 00000000C2F4: D86C4C80 62000015
	ds_read_b32 v99, v21 offset:19648                          // 00000000C2FC: D86C4CC0 63000015
	ds_read_b32 v100, v21 offset:21760                         // 00000000C304: D86C5500 64000015
	ds_read_b32 v101, v21 offset:21824                         // 00000000C30C: D86C5540 65000015
	ds_read_b32 v102, v21 offset:23936                         // 00000000C314: D86C5D80 66000015
	ds_read_b32 v103, v21 offset:24000                         // 00000000C31C: D86C5DC0 67000015
	ds_read_b32 v104, v21 offset:26112                         // 00000000C324: D86C6600 68000015
	ds_read_b32 v105, v21 offset:26176                         // 00000000C32C: D86C6640 69000015
	ds_read_b32 v106, v21 offset:28288                         // 00000000C334: D86C6E80 6A000015
	ds_read_b32 v107, v21 offset:28352                         // 00000000C33C: D86C6EC0 6B000015
	ds_read_b32 v108, v21 offset:30464                         // 00000000C344: D86C7700 6C000015
	ds_read_b32 v109, v21 offset:30528                         // 00000000C34C: D86C7740 6D000015
	ds_read_b32 v110, v21 offset:32640                         // 00000000C354: D86C7F80 6E000015
	ds_read_b32 v111, v21 offset:32704                         // 00000000C35C: D86C7FC0 6F000015
	s_waitcnt lgkmcnt(0)                                       // 00000000C364: BF8CC07F
	s_mov_b32 s36, -1                                          // 00000000C368: BEA400C1
	s_mov_b32 s37, -1                                          // 00000000C36C: BEA500C1
	v_mov_b32_e32 v7, 0                                        // 00000000C370: 7E0E0280
	s_or_b32 s9, s9, 0x40000                                   // 00000000C374: 8709FF09 00040000
	s_mov_b64 exec, s[36:37]                                   // 00000000C37C: BEFE0124
	v_mov_b32_e32 v6, v60                                      // 00000000C380: 7E0C033C
	s_mov_b64 s[60:61], 0                                      // 00000000C384: BEBC0180
	v_readlane_b32 s82, v3, 0                                  // 00000000C388: D2890052 00010103
	s_and_b32 s82, s82, 0xffffff                               // 00000000C390: 8652FF52 00FFFFFF
	s_cmp_lt_u32 s82, s66                                      // 00000000C398: BF0A4252
	s_cselect_b32 s20, s36, s60                                // 00000000C39C: 85143C24
	v_readlane_b32 s82, v3, 1                                  // 00000000C3A0: D2890052 00010303
	s_and_b32 s82, s82, 0xffffff                               // 00000000C3A8: 8652FF52 00FFFFFF
	s_cmp_lt_u32 s82, s66                                      // 00000000C3B0: BF0A4252
	s_cselect_b32 s21, s36, s60                                // 00000000C3B4: 85153C24
	s_mov_b64 exec, s[20:21]                                   // 00000000C3B8: BEFE0114
	buffer_store_dword v80, v6, s[8:11], 0 offen               // 00000000C3BC: E0701000 80025006
	buffer_store_dword v82, v6, s[8:11], 0 offen offset:128    // 00000000C3C4: E0701080 80025206
	s_mov_b64 exec, s[36:37]                                   // 00000000C3CC: BEFE0124
	v_mov_b32_e32 v6, v61                                      // 00000000C3D0: 7E0C033D
	s_mov_b64 s[60:61], 0                                      // 00000000C3D4: BEBC0180
	v_readlane_b32 s82, v3, 2                                  // 00000000C3D8: D2890052 00010503
	s_and_b32 s82, s82, 0xffffff                               // 00000000C3E0: 8652FF52 00FFFFFF
	s_cmp_lt_u32 s82, s66                                      // 00000000C3E8: BF0A4252
	s_cselect_b32 s20, s36, s60                                // 00000000C3EC: 85143C24
	v_readlane_b32 s82, v3, 3                                  // 00000000C3F0: D2890052 00010703
	s_and_b32 s82, s82, 0xffffff                               // 00000000C3F8: 8652FF52 00FFFFFF
	s_cmp_lt_u32 s82, s66                                      // 00000000C400: BF0A4252
	s_cselect_b32 s21, s36, s60                                // 00000000C404: 85153C24
	s_mov_b64 exec, s[20:21]                                   // 00000000C408: BEFE0114
	buffer_store_dword v81, v6, s[8:11], 0 offen               // 00000000C40C: E0701000 80025106
	buffer_store_dword v83, v6, s[8:11], 0 offen offset:128    // 00000000C414: E0701080 80025306
	s_mov_b64 exec, s[36:37]                                   // 00000000C41C: BEFE0124
	v_mov_b32_e32 v6, v62                                      // 00000000C420: 7E0C033E
	s_mov_b64 s[60:61], 0                                      // 00000000C424: BEBC0180
	v_readlane_b32 s82, v3, 4                                  // 00000000C428: D2890052 00010903
	s_and_b32 s82, s82, 0xffffff                               // 00000000C430: 8652FF52 00FFFFFF
	s_cmp_lt_u32 s82, s66                                      // 00000000C438: BF0A4252
	s_cselect_b32 s20, s36, s60                                // 00000000C43C: 85143C24
	v_readlane_b32 s82, v3, 5                                  // 00000000C440: D2890052 00010B03
	s_and_b32 s82, s82, 0xffffff                               // 00000000C448: 8652FF52 00FFFFFF
	s_cmp_lt_u32 s82, s66                                      // 00000000C450: BF0A4252
	s_cselect_b32 s21, s36, s60                                // 00000000C454: 85153C24
	s_mov_b64 exec, s[20:21]                                   // 00000000C458: BEFE0114
	buffer_store_dword v84, v6, s[8:11], 0 offen               // 00000000C45C: E0701000 80025406
	buffer_store_dword v86, v6, s[8:11], 0 offen offset:128    // 00000000C464: E0701080 80025606
	s_mov_b64 exec, s[36:37]                                   // 00000000C46C: BEFE0124
	v_mov_b32_e32 v6, v63                                      // 00000000C470: 7E0C033F
	s_mov_b64 s[60:61], 0                                      // 00000000C474: BEBC0180
	v_readlane_b32 s82, v3, 6                                  // 00000000C478: D2890052 00010D03
	s_and_b32 s82, s82, 0xffffff                               // 00000000C480: 8652FF52 00FFFFFF
	s_cmp_lt_u32 s82, s66                                      // 00000000C488: BF0A4252
	s_cselect_b32 s20, s36, s60                                // 00000000C48C: 85143C24
	v_readlane_b32 s82, v3, 7                                  // 00000000C490: D2890052 00010F03
	s_and_b32 s82, s82, 0xffffff                               // 00000000C498: 8652FF52 00FFFFFF
	s_cmp_lt_u32 s82, s66                                      // 00000000C4A0: BF0A4252
	s_cselect_b32 s21, s36, s60                                // 00000000C4A4: 85153C24
	s_mov_b64 exec, s[20:21]                                   // 00000000C4A8: BEFE0114
	buffer_store_dword v85, v6, s[8:11], 0 offen               // 00000000C4AC: E0701000 80025506
	buffer_store_dword v87, v6, s[8:11], 0 offen offset:128    // 00000000C4B4: E0701080 80025706
	s_mov_b64 exec, s[36:37]                                   // 00000000C4BC: BEFE0124
	v_mov_b32_e32 v6, v64                                      // 00000000C4C0: 7E0C0340
	s_mov_b64 s[60:61], 0                                      // 00000000C4C4: BEBC0180
	v_readlane_b32 s82, v3, 8                                  // 00000000C4C8: D2890052 00011103
	s_and_b32 s82, s82, 0xffffff                               // 00000000C4D0: 8652FF52 00FFFFFF
	s_cmp_lt_u32 s82, s66                                      // 00000000C4D8: BF0A4252
	s_cselect_b32 s20, s36, s60                                // 00000000C4DC: 85143C24
	v_readlane_b32 s82, v3, 9                                  // 00000000C4E0: D2890052 00011303
	s_and_b32 s82, s82, 0xffffff                               // 00000000C4E8: 8652FF52 00FFFFFF
	s_cmp_lt_u32 s82, s66                                      // 00000000C4F0: BF0A4252
	s_cselect_b32 s21, s36, s60                                // 00000000C4F4: 85153C24
	s_mov_b64 exec, s[20:21]                                   // 00000000C4F8: BEFE0114
	buffer_store_dword v88, v6, s[8:11], 0 offen               // 00000000C4FC: E0701000 80025806
	buffer_store_dword v90, v6, s[8:11], 0 offen offset:128    // 00000000C504: E0701080 80025A06
	s_mov_b64 exec, s[36:37]                                   // 00000000C50C: BEFE0124
	v_mov_b32_e32 v6, v65                                      // 00000000C510: 7E0C0341
	s_mov_b64 s[60:61], 0                                      // 00000000C514: BEBC0180
	v_readlane_b32 s82, v3, 10                                 // 00000000C518: D2890052 00011503
	s_and_b32 s82, s82, 0xffffff                               // 00000000C520: 8652FF52 00FFFFFF
	s_cmp_lt_u32 s82, s66                                      // 00000000C528: BF0A4252
	s_cselect_b32 s20, s36, s60                                // 00000000C52C: 85143C24
	v_readlane_b32 s82, v3, 11                                 // 00000000C530: D2890052 00011703
	s_and_b32 s82, s82, 0xffffff                               // 00000000C538: 8652FF52 00FFFFFF
	s_cmp_lt_u32 s82, s66                                      // 00000000C540: BF0A4252
	s_cselect_b32 s21, s36, s60                                // 00000000C544: 85153C24
	s_mov_b64 exec, s[20:21]                                   // 00000000C548: BEFE0114
	buffer_store_dword v89, v6, s[8:11], 0 offen               // 00000000C54C: E0701000 80025906
	buffer_store_dword v91, v6, s[8:11], 0 offen offset:128    // 00000000C554: E0701080 80025B06
	s_mov_b64 exec, s[36:37]                                   // 00000000C55C: BEFE0124
	v_mov_b32_e32 v6, v66                                      // 00000000C560: 7E0C0342
	s_mov_b64 s[60:61], 0                                      // 00000000C564: BEBC0180
	v_readlane_b32 s82, v3, 12                                 // 00000000C568: D2890052 00011903
	s_and_b32 s82, s82, 0xffffff                               // 00000000C570: 8652FF52 00FFFFFF
	s_cmp_lt_u32 s82, s66                                      // 00000000C578: BF0A4252
	s_cselect_b32 s20, s36, s60                                // 00000000C57C: 85143C24
	v_readlane_b32 s82, v3, 13                                 // 00000000C580: D2890052 00011B03
	s_and_b32 s82, s82, 0xffffff                               // 00000000C588: 8652FF52 00FFFFFF
	s_cmp_lt_u32 s82, s66                                      // 00000000C590: BF0A4252
	s_cselect_b32 s21, s36, s60                                // 00000000C594: 85153C24
	s_mov_b64 exec, s[20:21]                                   // 00000000C598: BEFE0114
	buffer_store_dword v92, v6, s[8:11], 0 offen               // 00000000C59C: E0701000 80025C06
	buffer_store_dword v94, v6, s[8:11], 0 offen offset:128    // 00000000C5A4: E0701080 80025E06
	s_mov_b64 exec, s[36:37]                                   // 00000000C5AC: BEFE0124
	v_mov_b32_e32 v6, v67                                      // 00000000C5B0: 7E0C0343
	s_mov_b64 s[60:61], 0                                      // 00000000C5B4: BEBC0180
	v_readlane_b32 s82, v3, 14                                 // 00000000C5B8: D2890052 00011D03
	s_and_b32 s82, s82, 0xffffff                               // 00000000C5C0: 8652FF52 00FFFFFF
	s_cmp_lt_u32 s82, s66                                      // 00000000C5C8: BF0A4252
	s_cselect_b32 s20, s36, s60                                // 00000000C5CC: 85143C24
	v_readlane_b32 s82, v3, 15                                 // 00000000C5D0: D2890052 00011F03
	s_and_b32 s82, s82, 0xffffff                               // 00000000C5D8: 8652FF52 00FFFFFF
	s_cmp_lt_u32 s82, s66                                      // 00000000C5E0: BF0A4252
	s_cselect_b32 s21, s36, s60                                // 00000000C5E4: 85153C24
	s_mov_b64 exec, s[20:21]                                   // 00000000C5E8: BEFE0114
	buffer_store_dword v93, v6, s[8:11], 0 offen               // 00000000C5EC: E0701000 80025D06
	buffer_store_dword v95, v6, s[8:11], 0 offen offset:128    // 00000000C5F4: E0701080 80025F06
	s_mov_b64 exec, s[36:37]                                   // 00000000C5FC: BEFE0124
	v_mov_b32_e32 v6, v68                                      // 00000000C600: 7E0C0344
	s_mov_b64 s[60:61], 0                                      // 00000000C604: BEBC0180
	v_readlane_b32 s82, v3, 16                                 // 00000000C608: D2890052 00012103
	s_and_b32 s82, s82, 0xffffff                               // 00000000C610: 8652FF52 00FFFFFF
	s_cmp_lt_u32 s82, s66                                      // 00000000C618: BF0A4252
	s_cselect_b32 s20, s36, s60                                // 00000000C61C: 85143C24
	v_readlane_b32 s82, v3, 17                                 // 00000000C620: D2890052 00012303
	s_and_b32 s82, s82, 0xffffff                               // 00000000C628: 8652FF52 00FFFFFF
	s_cmp_lt_u32 s82, s66                                      // 00000000C630: BF0A4252
	s_cselect_b32 s21, s36, s60                                // 00000000C634: 85153C24
	s_mov_b64 exec, s[20:21]                                   // 00000000C638: BEFE0114
	buffer_store_dword v96, v6, s[8:11], 0 offen               // 00000000C63C: E0701000 80026006
	buffer_store_dword v98, v6, s[8:11], 0 offen offset:128    // 00000000C644: E0701080 80026206
	s_mov_b64 exec, s[36:37]                                   // 00000000C64C: BEFE0124
	v_mov_b32_e32 v6, v69                                      // 00000000C650: 7E0C0345
	s_mov_b64 s[60:61], 0                                      // 00000000C654: BEBC0180
	v_readlane_b32 s82, v3, 18                                 // 00000000C658: D2890052 00012503
	s_and_b32 s82, s82, 0xffffff                               // 00000000C660: 8652FF52 00FFFFFF
	s_cmp_lt_u32 s82, s66                                      // 00000000C668: BF0A4252
	s_cselect_b32 s20, s36, s60                                // 00000000C66C: 85143C24
	v_readlane_b32 s82, v3, 19                                 // 00000000C670: D2890052 00012703
	s_and_b32 s82, s82, 0xffffff                               // 00000000C678: 8652FF52 00FFFFFF
	s_cmp_lt_u32 s82, s66                                      // 00000000C680: BF0A4252
	s_cselect_b32 s21, s36, s60                                // 00000000C684: 85153C24
	s_mov_b64 exec, s[20:21]                                   // 00000000C688: BEFE0114
	buffer_store_dword v97, v6, s[8:11], 0 offen               // 00000000C68C: E0701000 80026106
	buffer_store_dword v99, v6, s[8:11], 0 offen offset:128    // 00000000C694: E0701080 80026306
	s_mov_b64 exec, s[36:37]                                   // 00000000C69C: BEFE0124
	v_mov_b32_e32 v6, v70                                      // 00000000C6A0: 7E0C0346
	s_mov_b64 s[60:61], 0                                      // 00000000C6A4: BEBC0180
	v_readlane_b32 s82, v3, 20                                 // 00000000C6A8: D2890052 00012903
	s_and_b32 s82, s82, 0xffffff                               // 00000000C6B0: 8652FF52 00FFFFFF
	s_cmp_lt_u32 s82, s66                                      // 00000000C6B8: BF0A4252
	s_cselect_b32 s20, s36, s60                                // 00000000C6BC: 85143C24
	v_readlane_b32 s82, v3, 21                                 // 00000000C6C0: D2890052 00012B03
	s_and_b32 s82, s82, 0xffffff                               // 00000000C6C8: 8652FF52 00FFFFFF
	s_cmp_lt_u32 s82, s66                                      // 00000000C6D0: BF0A4252
	s_cselect_b32 s21, s36, s60                                // 00000000C6D4: 85153C24
	s_mov_b64 exec, s[20:21]                                   // 00000000C6D8: BEFE0114
	buffer_store_dword v100, v6, s[8:11], 0 offen              // 00000000C6DC: E0701000 80026406
	buffer_store_dword v102, v6, s[8:11], 0 offen offset:128   // 00000000C6E4: E0701080 80026606
	s_mov_b64 exec, s[36:37]                                   // 00000000C6EC: BEFE0124
	v_mov_b32_e32 v6, v71                                      // 00000000C6F0: 7E0C0347
	s_mov_b64 s[60:61], 0                                      // 00000000C6F4: BEBC0180
	v_readlane_b32 s82, v3, 22                                 // 00000000C6F8: D2890052 00012D03
	s_and_b32 s82, s82, 0xffffff                               // 00000000C700: 8652FF52 00FFFFFF
	s_cmp_lt_u32 s82, s66                                      // 00000000C708: BF0A4252
	s_cselect_b32 s20, s36, s60                                // 00000000C70C: 85143C24
	v_readlane_b32 s82, v3, 23                                 // 00000000C710: D2890052 00012F03
	s_and_b32 s82, s82, 0xffffff                               // 00000000C718: 8652FF52 00FFFFFF
	s_cmp_lt_u32 s82, s66                                      // 00000000C720: BF0A4252
	s_cselect_b32 s21, s36, s60                                // 00000000C724: 85153C24
	s_mov_b64 exec, s[20:21]                                   // 00000000C728: BEFE0114
	buffer_store_dword v101, v6, s[8:11], 0 offen              // 00000000C72C: E0701000 80026506
	buffer_store_dword v103, v6, s[8:11], 0 offen offset:128   // 00000000C734: E0701080 80026706
	s_mov_b64 exec, s[36:37]                                   // 00000000C73C: BEFE0124
	v_mov_b32_e32 v6, v72                                      // 00000000C740: 7E0C0348
	s_mov_b64 s[60:61], 0                                      // 00000000C744: BEBC0180
	v_readlane_b32 s82, v3, 24                                 // 00000000C748: D2890052 00013103
	s_and_b32 s82, s82, 0xffffff                               // 00000000C750: 8652FF52 00FFFFFF
	s_cmp_lt_u32 s82, s66                                      // 00000000C758: BF0A4252
	s_cselect_b32 s20, s36, s60                                // 00000000C75C: 85143C24
	v_readlane_b32 s82, v3, 25                                 // 00000000C760: D2890052 00013303
	s_and_b32 s82, s82, 0xffffff                               // 00000000C768: 8652FF52 00FFFFFF
	s_cmp_lt_u32 s82, s66                                      // 00000000C770: BF0A4252
	s_cselect_b32 s21, s36, s60                                // 00000000C774: 85153C24
	s_mov_b64 exec, s[20:21]                                   // 00000000C778: BEFE0114
	buffer_store_dword v104, v6, s[8:11], 0 offen              // 00000000C77C: E0701000 80026806
	buffer_store_dword v106, v6, s[8:11], 0 offen offset:128   // 00000000C784: E0701080 80026A06
	s_mov_b64 exec, s[36:37]                                   // 00000000C78C: BEFE0124
	v_mov_b32_e32 v6, v73                                      // 00000000C790: 7E0C0349
	s_mov_b64 s[60:61], 0                                      // 00000000C794: BEBC0180
	v_readlane_b32 s82, v3, 26                                 // 00000000C798: D2890052 00013503
	s_and_b32 s82, s82, 0xffffff                               // 00000000C7A0: 8652FF52 00FFFFFF
	s_cmp_lt_u32 s82, s66                                      // 00000000C7A8: BF0A4252
	s_cselect_b32 s20, s36, s60                                // 00000000C7AC: 85143C24
	v_readlane_b32 s82, v3, 27                                 // 00000000C7B0: D2890052 00013703
	s_and_b32 s82, s82, 0xffffff                               // 00000000C7B8: 8652FF52 00FFFFFF
	s_cmp_lt_u32 s82, s66                                      // 00000000C7C0: BF0A4252
	s_cselect_b32 s21, s36, s60                                // 00000000C7C4: 85153C24
	s_mov_b64 exec, s[20:21]                                   // 00000000C7C8: BEFE0114
	buffer_store_dword v105, v6, s[8:11], 0 offen              // 00000000C7CC: E0701000 80026906
	buffer_store_dword v107, v6, s[8:11], 0 offen offset:128   // 00000000C7D4: E0701080 80026B06
	s_mov_b64 exec, s[36:37]                                   // 00000000C7DC: BEFE0124
	v_mov_b32_e32 v6, v74                                      // 00000000C7E0: 7E0C034A
	s_mov_b64 s[60:61], 0                                      // 00000000C7E4: BEBC0180
	v_readlane_b32 s82, v3, 28                                 // 00000000C7E8: D2890052 00013903
	s_and_b32 s82, s82, 0xffffff                               // 00000000C7F0: 8652FF52 00FFFFFF
	s_cmp_lt_u32 s82, s66                                      // 00000000C7F8: BF0A4252
	s_cselect_b32 s20, s36, s60                                // 00000000C7FC: 85143C24
	v_readlane_b32 s82, v3, 29                                 // 00000000C800: D2890052 00013B03
	s_and_b32 s82, s82, 0xffffff                               // 00000000C808: 8652FF52 00FFFFFF
	s_cmp_lt_u32 s82, s66                                      // 00000000C810: BF0A4252
	s_cselect_b32 s21, s36, s60                                // 00000000C814: 85153C24
	s_mov_b64 exec, s[20:21]                                   // 00000000C818: BEFE0114
	buffer_store_dword v108, v6, s[8:11], 0 offen              // 00000000C81C: E0701000 80026C06
	buffer_store_dword v110, v6, s[8:11], 0 offen offset:128   // 00000000C824: E0701080 80026E06
	s_mov_b64 exec, s[36:37]                                   // 00000000C82C: BEFE0124
	v_mov_b32_e32 v6, v75                                      // 00000000C830: 7E0C034B
	s_mov_b64 s[60:61], 0                                      // 00000000C834: BEBC0180
	v_readlane_b32 s82, v3, 30                                 // 00000000C838: D2890052 00013D03
	s_and_b32 s82, s82, 0xffffff                               // 00000000C840: 8652FF52 00FFFFFF
	s_cmp_lt_u32 s82, s66                                      // 00000000C848: BF0A4252
	s_cselect_b32 s20, s36, s60                                // 00000000C84C: 85143C24
	v_readlane_b32 s82, v3, 31                                 // 00000000C850: D2890052 00013F03
	s_and_b32 s82, s82, 0xffffff                               // 00000000C858: 8652FF52 00FFFFFF
	s_cmp_lt_u32 s82, s66                                      // 00000000C860: BF0A4252
	s_cselect_b32 s21, s36, s60                                // 00000000C864: 85153C24
	s_mov_b64 exec, s[20:21]                                   // 00000000C868: BEFE0114
	buffer_store_dword v109, v6, s[8:11], 0 offen              // 00000000C86C: E0701000 80026D06
	buffer_store_dword v111, v6, s[8:11], 0 offen offset:128   // 00000000C874: E0701080 80026F06
	s_mov_b64 exec, s[36:37]                                   // 00000000C87C: BEFE0124
	s_branch label_2FAE                                        // 00000000C880: BF82080A

000000000000c884 <label_27A4>:
	ds_write_b64 v20, v[80:81]                                 // 00000000C884: D89A0000 00005014
	ds_write_b64 v20, v[84:85] offset:4352                     // 00000000C88C: D89A1100 00005414
	ds_write_b64 v20, v[88:89] offset:8704                     // 00000000C894: D89A2200 00005814
	ds_write_b64 v20, v[92:93] offset:13056                    // 00000000C89C: D89A3300 00005C14
	ds_write_b64 v20, v[96:97] offset:17408                    // 00000000C8A4: D89A4400 00006014
	ds_write_b64 v20, v[100:101] offset:21760                  // 00000000C8AC: D89A5500 00006414
	ds_write_b64 v20, v[104:105] offset:26112                  // 00000000C8B4: D89A6600 00006814
	ds_write_b64 v20, v[108:109] offset:30464                  // 00000000C8BC: D89A7700 00006C14
	ds_write_b64 v20, v[112:113] offset:2176                   // 00000000C8C4: D89A0880 00007014
	ds_write_b64 v20, v[116:117] offset:6528                   // 00000000C8CC: D89A1980 00007414
	ds_write_b64 v20, v[120:121] offset:10880                  // 00000000C8D4: D89A2A80 00007814
	ds_write_b64 v20, v[124:125] offset:15232                  // 00000000C8DC: D89A3B80 00007C14
	ds_write_b64 v20, v[128:129] offset:19584                  // 00000000C8E4: D89A4C80 00008014
	ds_write_b64 v20, v[132:133] offset:23936                  // 00000000C8EC: D89A5D80 00008414
	ds_write_b64 v20, v[136:137] offset:28288                  // 00000000C8F4: D89A6E80 00008814
	ds_write_b64 v20, v[140:141] offset:32640                  // 00000000C8FC: D89A7F80 00008C14
	v_lshrrev_b32_e32 v4, 5, v0                                // 00000000C904: 20080085
	v_xor_b32_e32 v5, 1, v4                                    // 00000000C908: 2A0A0881
	s_mul_i32 s60, s65, 2                                      // 00000000C90C: 923C8241
	s_cmp_eq_u32 s88, 0                                        // 00000000C910: BF068058
	s_cselect_b32 s61, 1, 4                                    // 00000000C914: 853D8481
	s_mul_i32 s60, s61, s60                                    // 00000000C918: 923C3C3D
	v_readlane_b32 s82, v3, 0                                  // 00000000C91C: D2890052 00010103
	s_lshr_b32 s61, s82, 24                                    // 00000000C924: 8F3D9852
	s_and_b32 s82, s82, 0xffffff                               // 00000000C928: 8652FF52 00FFFFFF
	s_mul_i32 s82, s82, s71                                    // 00000000C930: 92524752
	s_mul_i32 s61, s60, s61                                    // 00000000C934: 923D3D3C
	s_add_u32 s82, s82, s61                                    // 00000000C938: 80523D52
	v_mul_lo_u32 v6, v5, s82                                   // 00000000C93C: D2850006 0000A505
	v_readlane_b32 s82, v3, 1                                  // 00000000C944: D2890052 00010303
	s_lshr_b32 s61, s82, 24                                    // 00000000C94C: 8F3D9852
	s_and_b32 s82, s82, 0xffffff                               // 00000000C950: 8652FF52 00FFFFFF
	s_mul_i32 s82, s82, s71                                    // 00000000C958: 92524752
	s_mul_i32 s61, s60, s61                                    // 00000000C95C: 923D3D3C
	s_add_u32 s82, s82, s61                                    // 00000000C960: 80523D52
	v_mul_lo_u32 v7, v4, s82                                   // 00000000C964: D2850007 0000A504
	v_add_u32_e32 v60, v6, v7                                  // 00000000C96C: 68780F06
	v_readlane_b32 s82, v3, 2                                  // 00000000C970: D2890052 00010503
	s_lshr_b32 s61, s82, 24                                    // 00000000C978: 8F3D9852
	s_and_b32 s82, s82, 0xffffff                               // 00000000C97C: 8652FF52 00FFFFFF
	s_mul_i32 s82, s82, s71                                    // 00000000C984: 92524752
	s_mul_i32 s61, s60, s61                                    // 00000000C988: 923D3D3C
	s_add_u32 s82, s82, s61                                    // 00000000C98C: 80523D52
	v_mul_lo_u32 v6, v5, s82                                   // 00000000C990: D2850006 0000A505
	v_readlane_b32 s82, v3, 3                                  // 00000000C998: D2890052 00010703
	s_lshr_b32 s61, s82, 24                                    // 00000000C9A0: 8F3D9852
	s_and_b32 s82, s82, 0xffffff                               // 00000000C9A4: 8652FF52 00FFFFFF
	s_mul_i32 s82, s82, s71                                    // 00000000C9AC: 92524752
	s_mul_i32 s61, s60, s61                                    // 00000000C9B0: 923D3D3C
	s_add_u32 s82, s82, s61                                    // 00000000C9B4: 80523D52
	v_mul_lo_u32 v7, v4, s82                                   // 00000000C9B8: D2850007 0000A504
	v_add_u32_e32 v61, v6, v7                                  // 00000000C9C0: 687A0F06
	v_readlane_b32 s82, v3, 4                                  // 00000000C9C4: D2890052 00010903
	s_lshr_b32 s61, s82, 24                                    // 00000000C9CC: 8F3D9852
	s_and_b32 s82, s82, 0xffffff                               // 00000000C9D0: 8652FF52 00FFFFFF
	s_mul_i32 s82, s82, s71                                    // 00000000C9D8: 92524752
	s_mul_i32 s61, s60, s61                                    // 00000000C9DC: 923D3D3C
	s_add_u32 s82, s82, s61                                    // 00000000C9E0: 80523D52
	v_mul_lo_u32 v6, v5, s82                                   // 00000000C9E4: D2850006 0000A505
	v_readlane_b32 s82, v3, 5                                  // 00000000C9EC: D2890052 00010B03
	s_lshr_b32 s61, s82, 24                                    // 00000000C9F4: 8F3D9852
	s_and_b32 s82, s82, 0xffffff                               // 00000000C9F8: 8652FF52 00FFFFFF
	s_mul_i32 s82, s82, s71                                    // 00000000CA00: 92524752
	s_mul_i32 s61, s60, s61                                    // 00000000CA04: 923D3D3C
	s_add_u32 s82, s82, s61                                    // 00000000CA08: 80523D52
	v_mul_lo_u32 v7, v4, s82                                   // 00000000CA0C: D2850007 0000A504
	v_add_u32_e32 v62, v6, v7                                  // 00000000CA14: 687C0F06
	v_readlane_b32 s82, v3, 6                                  // 00000000CA18: D2890052 00010D03
	s_lshr_b32 s61, s82, 24                                    // 00000000CA20: 8F3D9852
	s_and_b32 s82, s82, 0xffffff                               // 00000000CA24: 8652FF52 00FFFFFF
	s_mul_i32 s82, s82, s71                                    // 00000000CA2C: 92524752
	s_mul_i32 s61, s60, s61                                    // 00000000CA30: 923D3D3C
	s_add_u32 s82, s82, s61                                    // 00000000CA34: 80523D52
	v_mul_lo_u32 v6, v5, s82                                   // 00000000CA38: D2850006 0000A505
	v_readlane_b32 s82, v3, 7                                  // 00000000CA40: D2890052 00010F03
	s_lshr_b32 s61, s82, 24                                    // 00000000CA48: 8F3D9852
	s_and_b32 s82, s82, 0xffffff                               // 00000000CA4C: 8652FF52 00FFFFFF
	s_mul_i32 s82, s82, s71                                    // 00000000CA54: 92524752
	s_mul_i32 s61, s60, s61                                    // 00000000CA58: 923D3D3C
	s_add_u32 s82, s82, s61                                    // 00000000CA5C: 80523D52
	v_mul_lo_u32 v7, v4, s82                                   // 00000000CA60: D2850007 0000A504
	v_add_u32_e32 v63, v6, v7                                  // 00000000CA68: 687E0F06
	v_readlane_b32 s82, v3, 8                                  // 00000000CA6C: D2890052 00011103
	s_lshr_b32 s61, s82, 24                                    // 00000000CA74: 8F3D9852
	s_and_b32 s82, s82, 0xffffff                               // 00000000CA78: 8652FF52 00FFFFFF
	s_mul_i32 s82, s82, s71                                    // 00000000CA80: 92524752
	s_mul_i32 s61, s60, s61                                    // 00000000CA84: 923D3D3C
	s_add_u32 s82, s82, s61                                    // 00000000CA88: 80523D52
	v_mul_lo_u32 v6, v5, s82                                   // 00000000CA8C: D2850006 0000A505
	v_readlane_b32 s82, v3, 9                                  // 00000000CA94: D2890052 00011303
	s_lshr_b32 s61, s82, 24                                    // 00000000CA9C: 8F3D9852
	s_and_b32 s82, s82, 0xffffff                               // 00000000CAA0: 8652FF52 00FFFFFF
	s_mul_i32 s82, s82, s71                                    // 00000000CAA8: 92524752
	s_mul_i32 s61, s60, s61                                    // 00000000CAAC: 923D3D3C
	s_add_u32 s82, s82, s61                                    // 00000000CAB0: 80523D52
	v_mul_lo_u32 v7, v4, s82                                   // 00000000CAB4: D2850007 0000A504
	v_add_u32_e32 v64, v6, v7                                  // 00000000CABC: 68800F06
	v_readlane_b32 s82, v3, 10                                 // 00000000CAC0: D2890052 00011503
	s_lshr_b32 s61, s82, 24                                    // 00000000CAC8: 8F3D9852
	s_and_b32 s82, s82, 0xffffff                               // 00000000CACC: 8652FF52 00FFFFFF
	s_mul_i32 s82, s82, s71                                    // 00000000CAD4: 92524752
	s_mul_i32 s61, s60, s61                                    // 00000000CAD8: 923D3D3C
	s_add_u32 s82, s82, s61                                    // 00000000CADC: 80523D52
	v_mul_lo_u32 v6, v5, s82                                   // 00000000CAE0: D2850006 0000A505
	v_readlane_b32 s82, v3, 11                                 // 00000000CAE8: D2890052 00011703
	s_lshr_b32 s61, s82, 24                                    // 00000000CAF0: 8F3D9852
	s_and_b32 s82, s82, 0xffffff                               // 00000000CAF4: 8652FF52 00FFFFFF
	s_mul_i32 s82, s82, s71                                    // 00000000CAFC: 92524752
	s_mul_i32 s61, s60, s61                                    // 00000000CB00: 923D3D3C
	s_add_u32 s82, s82, s61                                    // 00000000CB04: 80523D52
	v_mul_lo_u32 v7, v4, s82                                   // 00000000CB08: D2850007 0000A504
	v_add_u32_e32 v65, v6, v7                                  // 00000000CB10: 68820F06
	v_readlane_b32 s82, v3, 12                                 // 00000000CB14: D2890052 00011903
	s_lshr_b32 s61, s82, 24                                    // 00000000CB1C: 8F3D9852
	s_and_b32 s82, s82, 0xffffff                               // 00000000CB20: 8652FF52 00FFFFFF
	s_mul_i32 s82, s82, s71                                    // 00000000CB28: 92524752
	s_mul_i32 s61, s60, s61                                    // 00000000CB2C: 923D3D3C
	s_add_u32 s82, s82, s61                                    // 00000000CB30: 80523D52
	v_mul_lo_u32 v6, v5, s82                                   // 00000000CB34: D2850006 0000A505
	v_readlane_b32 s82, v3, 13                                 // 00000000CB3C: D2890052 00011B03
	s_lshr_b32 s61, s82, 24                                    // 00000000CB44: 8F3D9852
	s_and_b32 s82, s82, 0xffffff                               // 00000000CB48: 8652FF52 00FFFFFF
	s_mul_i32 s82, s82, s71                                    // 00000000CB50: 92524752
	s_mul_i32 s61, s60, s61                                    // 00000000CB54: 923D3D3C
	s_add_u32 s82, s82, s61                                    // 00000000CB58: 80523D52
	v_mul_lo_u32 v7, v4, s82                                   // 00000000CB5C: D2850007 0000A504
	v_add_u32_e32 v66, v6, v7                                  // 00000000CB64: 68840F06
	v_readlane_b32 s82, v3, 14                                 // 00000000CB68: D2890052 00011D03
	s_lshr_b32 s61, s82, 24                                    // 00000000CB70: 8F3D9852
	s_and_b32 s82, s82, 0xffffff                               // 00000000CB74: 8652FF52 00FFFFFF
	s_mul_i32 s82, s82, s71                                    // 00000000CB7C: 92524752
	s_mul_i32 s61, s60, s61                                    // 00000000CB80: 923D3D3C
	s_add_u32 s82, s82, s61                                    // 00000000CB84: 80523D52
	v_mul_lo_u32 v6, v5, s82                                   // 00000000CB88: D2850006 0000A505
	v_readlane_b32 s82, v3, 15                                 // 00000000CB90: D2890052 00011F03
	s_lshr_b32 s61, s82, 24                                    // 00000000CB98: 8F3D9852
	s_and_b32 s82, s82, 0xffffff                               // 00000000CB9C: 8652FF52 00FFFFFF
	s_mul_i32 s82, s82, s71                                    // 00000000CBA4: 92524752
	s_mul_i32 s61, s60, s61                                    // 00000000CBA8: 923D3D3C
	s_add_u32 s82, s82, s61                                    // 00000000CBAC: 80523D52
	v_mul_lo_u32 v7, v4, s82                                   // 00000000CBB0: D2850007 0000A504
	v_add_u32_e32 v67, v6, v7                                  // 00000000CBB8: 68860F06
	v_readlane_b32 s82, v3, 16                                 // 00000000CBBC: D2890052 00012103
	s_lshr_b32 s61, s82, 24                                    // 00000000CBC4: 8F3D9852
	s_and_b32 s82, s82, 0xffffff                               // 00000000CBC8: 8652FF52 00FFFFFF
	s_mul_i32 s82, s82, s71                                    // 00000000CBD0: 92524752
	s_mul_i32 s61, s60, s61                                    // 00000000CBD4: 923D3D3C
	s_add_u32 s82, s82, s61                                    // 00000000CBD8: 80523D52
	v_mul_lo_u32 v6, v5, s82                                   // 00000000CBDC: D2850006 0000A505
	v_readlane_b32 s82, v3, 17                                 // 00000000CBE4: D2890052 00012303
	s_lshr_b32 s61, s82, 24                                    // 00000000CBEC: 8F3D9852
	s_and_b32 s82, s82, 0xffffff                               // 00000000CBF0: 8652FF52 00FFFFFF
	s_mul_i32 s82, s82, s71                                    // 00000000CBF8: 92524752
	s_mul_i32 s61, s60, s61                                    // 00000000CBFC: 923D3D3C
	s_add_u32 s82, s82, s61                                    // 00000000CC00: 80523D52
	v_mul_lo_u32 v7, v4, s82                                   // 00000000CC04: D2850007 0000A504
	v_add_u32_e32 v68, v6, v7                                  // 00000000CC0C: 68880F06
	v_readlane_b32 s82, v3, 18                                 // 00000000CC10: D2890052 00012503
	s_lshr_b32 s61, s82, 24                                    // 00000000CC18: 8F3D9852
	s_and_b32 s82, s82, 0xffffff                               // 00000000CC1C: 8652FF52 00FFFFFF
	s_mul_i32 s82, s82, s71                                    // 00000000CC24: 92524752
	s_mul_i32 s61, s60, s61                                    // 00000000CC28: 923D3D3C
	s_add_u32 s82, s82, s61                                    // 00000000CC2C: 80523D52
	v_mul_lo_u32 v6, v5, s82                                   // 00000000CC30: D2850006 0000A505
	v_readlane_b32 s82, v3, 19                                 // 00000000CC38: D2890052 00012703
	s_lshr_b32 s61, s82, 24                                    // 00000000CC40: 8F3D9852
	s_and_b32 s82, s82, 0xffffff                               // 00000000CC44: 8652FF52 00FFFFFF
	s_mul_i32 s82, s82, s71                                    // 00000000CC4C: 92524752
	s_mul_i32 s61, s60, s61                                    // 00000000CC50: 923D3D3C
	s_add_u32 s82, s82, s61                                    // 00000000CC54: 80523D52
	v_mul_lo_u32 v7, v4, s82                                   // 00000000CC58: D2850007 0000A504
	v_add_u32_e32 v69, v6, v7                                  // 00000000CC60: 688A0F06
	v_readlane_b32 s82, v3, 20                                 // 00000000CC64: D2890052 00012903
	s_lshr_b32 s61, s82, 24                                    // 00000000CC6C: 8F3D9852
	s_and_b32 s82, s82, 0xffffff                               // 00000000CC70: 8652FF52 00FFFFFF
	s_mul_i32 s82, s82, s71                                    // 00000000CC78: 92524752
	s_mul_i32 s61, s60, s61                                    // 00000000CC7C: 923D3D3C
	s_add_u32 s82, s82, s61                                    // 00000000CC80: 80523D52
	v_mul_lo_u32 v6, v5, s82                                   // 00000000CC84: D2850006 0000A505
	v_readlane_b32 s82, v3, 21                                 // 00000000CC8C: D2890052 00012B03
	s_lshr_b32 s61, s82, 24                                    // 00000000CC94: 8F3D9852
	s_and_b32 s82, s82, 0xffffff                               // 00000000CC98: 8652FF52 00FFFFFF
	s_mul_i32 s82, s82, s71                                    // 00000000CCA0: 92524752
	s_mul_i32 s61, s60, s61                                    // 00000000CCA4: 923D3D3C
	s_add_u32 s82, s82, s61                                    // 00000000CCA8: 80523D52
	v_mul_lo_u32 v7, v4, s82                                   // 00000000CCAC: D2850007 0000A504
	v_add_u32_e32 v70, v6, v7                                  // 00000000CCB4: 688C0F06
	v_readlane_b32 s82, v3, 22                                 // 00000000CCB8: D2890052 00012D03
	s_lshr_b32 s61, s82, 24                                    // 00000000CCC0: 8F3D9852
	s_and_b32 s82, s82, 0xffffff                               // 00000000CCC4: 8652FF52 00FFFFFF
	s_mul_i32 s82, s82, s71                                    // 00000000CCCC: 92524752
	s_mul_i32 s61, s60, s61                                    // 00000000CCD0: 923D3D3C
	s_add_u32 s82, s82, s61                                    // 00000000CCD4: 80523D52
	v_mul_lo_u32 v6, v5, s82                                   // 00000000CCD8: D2850006 0000A505
	v_readlane_b32 s82, v3, 23                                 // 00000000CCE0: D2890052 00012F03
	s_lshr_b32 s61, s82, 24                                    // 00000000CCE8: 8F3D9852
	s_and_b32 s82, s82, 0xffffff                               // 00000000CCEC: 8652FF52 00FFFFFF
	s_mul_i32 s82, s82, s71                                    // 00000000CCF4: 92524752
	s_mul_i32 s61, s60, s61                                    // 00000000CCF8: 923D3D3C
	s_add_u32 s82, s82, s61                                    // 00000000CCFC: 80523D52
	v_mul_lo_u32 v7, v4, s82                                   // 00000000CD00: D2850007 0000A504
	v_add_u32_e32 v71, v6, v7                                  // 00000000CD08: 688E0F06
	v_readlane_b32 s82, v3, 24                                 // 00000000CD0C: D2890052 00013103
	s_lshr_b32 s61, s82, 24                                    // 00000000CD14: 8F3D9852
	s_and_b32 s82, s82, 0xffffff                               // 00000000CD18: 8652FF52 00FFFFFF
	s_mul_i32 s82, s82, s71                                    // 00000000CD20: 92524752
	s_mul_i32 s61, s60, s61                                    // 00000000CD24: 923D3D3C
	s_add_u32 s82, s82, s61                                    // 00000000CD28: 80523D52
	v_mul_lo_u32 v6, v5, s82                                   // 00000000CD2C: D2850006 0000A505
	v_readlane_b32 s82, v3, 25                                 // 00000000CD34: D2890052 00013303
	s_lshr_b32 s61, s82, 24                                    // 00000000CD3C: 8F3D9852
	s_and_b32 s82, s82, 0xffffff                               // 00000000CD40: 8652FF52 00FFFFFF
	s_mul_i32 s82, s82, s71                                    // 00000000CD48: 92524752
	s_mul_i32 s61, s60, s61                                    // 00000000CD4C: 923D3D3C
	s_add_u32 s82, s82, s61                                    // 00000000CD50: 80523D52
	v_mul_lo_u32 v7, v4, s82                                   // 00000000CD54: D2850007 0000A504
	v_add_u32_e32 v72, v6, v7                                  // 00000000CD5C: 68900F06
	v_readlane_b32 s82, v3, 26                                 // 00000000CD60: D2890052 00013503
	s_lshr_b32 s61, s82, 24                                    // 00000000CD68: 8F3D9852
	s_and_b32 s82, s82, 0xffffff                               // 00000000CD6C: 8652FF52 00FFFFFF
	s_mul_i32 s82, s82, s71                                    // 00000000CD74: 92524752
	s_mul_i32 s61, s60, s61                                    // 00000000CD78: 923D3D3C
	s_add_u32 s82, s82, s61                                    // 00000000CD7C: 80523D52
	v_mul_lo_u32 v6, v5, s82                                   // 00000000CD80: D2850006 0000A505
	v_readlane_b32 s82, v3, 27                                 // 00000000CD88: D2890052 00013703
	s_lshr_b32 s61, s82, 24                                    // 00000000CD90: 8F3D9852
	s_and_b32 s82, s82, 0xffffff                               // 00000000CD94: 8652FF52 00FFFFFF
	s_mul_i32 s82, s82, s71                                    // 00000000CD9C: 92524752
	s_mul_i32 s61, s60, s61                                    // 00000000CDA0: 923D3D3C
	s_add_u32 s82, s82, s61                                    // 00000000CDA4: 80523D52
	v_mul_lo_u32 v7, v4, s82                                   // 00000000CDA8: D2850007 0000A504
	v_add_u32_e32 v73, v6, v7                                  // 00000000CDB0: 68920F06
	v_readlane_b32 s82, v3, 28                                 // 00000000CDB4: D2890052 00013903
	s_lshr_b32 s61, s82, 24                                    // 00000000CDBC: 8F3D9852
	s_and_b32 s82, s82, 0xffffff                               // 00000000CDC0: 8652FF52 00FFFFFF
	s_mul_i32 s82, s82, s71                                    // 00000000CDC8: 92524752
	s_mul_i32 s61, s60, s61                                    // 00000000CDCC: 923D3D3C
	s_add_u32 s82, s82, s61                                    // 00000000CDD0: 80523D52
	v_mul_lo_u32 v6, v5, s82                                   // 00000000CDD4: D2850006 0000A505
	v_readlane_b32 s82, v3, 29                                 // 00000000CDDC: D2890052 00013B03
	s_lshr_b32 s61, s82, 24                                    // 00000000CDE4: 8F3D9852
	s_and_b32 s82, s82, 0xffffff                               // 00000000CDE8: 8652FF52 00FFFFFF
	s_mul_i32 s82, s82, s71                                    // 00000000CDF0: 92524752
	s_mul_i32 s61, s60, s61                                    // 00000000CDF4: 923D3D3C
	s_add_u32 s82, s82, s61                                    // 00000000CDF8: 80523D52
	v_mul_lo_u32 v7, v4, s82                                   // 00000000CDFC: D2850007 0000A504
	v_add_u32_e32 v74, v6, v7                                  // 00000000CE04: 68940F06
	v_readlane_b32 s82, v3, 30                                 // 00000000CE08: D2890052 00013D03
	s_lshr_b32 s61, s82, 24                                    // 00000000CE10: 8F3D9852
	s_and_b32 s82, s82, 0xffffff                               // 00000000CE14: 8652FF52 00FFFFFF
	s_mul_i32 s82, s82, s71                                    // 00000000CE1C: 92524752
	s_mul_i32 s61, s60, s61                                    // 00000000CE20: 923D3D3C
	s_add_u32 s82, s82, s61                                    // 00000000CE24: 80523D52
	v_mul_lo_u32 v6, v5, s82                                   // 00000000CE28: D2850006 0000A505
	v_readlane_b32 s82, v3, 31                                 // 00000000CE30: D2890052 00013F03
	s_lshr_b32 s61, s82, 24                                    // 00000000CE38: 8F3D9852
	s_and_b32 s82, s82, 0xffffff                               // 00000000CE3C: 8652FF52 00FFFFFF
	s_mul_i32 s82, s82, s71                                    // 00000000CE44: 92524752
	s_mul_i32 s61, s60, s61                                    // 00000000CE48: 923D3D3C
	s_add_u32 s82, s82, s61                                    // 00000000CE4C: 80523D52
	v_mul_lo_u32 v7, v4, s82                                   // 00000000CE50: D2850007 0000A504
	v_add_u32_e32 v75, v6, v7                                  // 00000000CE58: 68960F06
	v_and_b32_e32 v4, 31, v0                                   // 00000000CE5C: 2608009F
	v_lshrrev_b32_e32 v4, 1, v4                                // 00000000CE60: 20080881
	s_cmp_eq_u32 s88, 0                                        // 00000000CE64: BF068058
	s_cselect_b32 s61, 2, 4                                    // 00000000CE68: 853D8482
	v_mul_lo_u32 v4, v4, s61                                   // 00000000CE6C: D2850004 00007B04
	v_and_b32_e64 v5, v0, 1                                    // 00000000CE74: D1130005 00010300
	v_add_u32_e32 v4, v4, v5                                   // 00000000CE7C: 68080B04
	v_lshlrev_b32_e32 v4, 2, v4                                // 00000000CE80: 24080882
	v_add_u32_e32 v60, v60, v4                                 // 00000000CE84: 6878093C
	v_add_u32_e32 v61, v61, v4                                 // 00000000CE88: 687A093D
	v_add_u32_e32 v62, v62, v4                                 // 00000000CE8C: 687C093E
	v_add_u32_e32 v63, v63, v4                                 // 00000000CE90: 687E093F
	v_add_u32_e32 v64, v64, v4                                 // 00000000CE94: 68800940
	v_add_u32_e32 v65, v65, v4                                 // 00000000CE98: 68820941
	v_add_u32_e32 v66, v66, v4                                 // 00000000CE9C: 68840942
	v_add_u32_e32 v67, v67, v4                                 // 00000000CEA0: 68860943
	v_add_u32_e32 v68, v68, v4                                 // 00000000CEA4: 68880944
	v_add_u32_e32 v69, v69, v4                                 // 00000000CEA8: 688A0945
	v_add_u32_e32 v70, v70, v4                                 // 00000000CEAC: 688C0946
	v_add_u32_e32 v71, v71, v4                                 // 00000000CEB0: 688E0947
	v_add_u32_e32 v72, v72, v4                                 // 00000000CEB4: 68900948
	v_add_u32_e32 v73, v73, v4                                 // 00000000CEB8: 68920949
	v_add_u32_e32 v74, v74, v4                                 // 00000000CEBC: 6894094A
	v_add_u32_e32 v75, v75, v4                                 // 00000000CEC0: 6896094B
	s_waitcnt lgkmcnt(0)                                       // 00000000CEC4: BF8CC07F
	s_barrier                                                  // 00000000CEC8: BF8A0000
	ds_read_b32 v80, v21                                       // 00000000CECC: D86C0000 50000015
	ds_read_b32 v81, v21 offset:64                             // 00000000CED4: D86C0040 51000015
	ds_read_b32 v84, v21 offset:2176                           // 00000000CEDC: D86C0880 54000015
	ds_read_b32 v85, v21 offset:2240                           // 00000000CEE4: D86C08C0 55000015
	ds_read_b32 v88, v21 offset:4352                           // 00000000CEEC: D86C1100 58000015
	ds_read_b32 v89, v21 offset:4416                           // 00000000CEF4: D86C1140 59000015
	ds_read_b32 v92, v21 offset:6528                           // 00000000CEFC: D86C1980 5C000015
	ds_read_b32 v93, v21 offset:6592                           // 00000000CF04: D86C19C0 5D000015
	ds_read_b32 v96, v21 offset:8704                           // 00000000CF0C: D86C2200 60000015
	ds_read_b32 v97, v21 offset:8768                           // 00000000CF14: D86C2240 61000015
	ds_read_b32 v100, v21 offset:10880                         // 00000000CF1C: D86C2A80 64000015
	ds_read_b32 v101, v21 offset:10944                         // 00000000CF24: D86C2AC0 65000015
	ds_read_b32 v104, v21 offset:13056                         // 00000000CF2C: D86C3300 68000015
	ds_read_b32 v105, v21 offset:13120                         // 00000000CF34: D86C3340 69000015
	ds_read_b32 v108, v21 offset:15232                         // 00000000CF3C: D86C3B80 6C000015
	ds_read_b32 v109, v21 offset:15296                         // 00000000CF44: D86C3BC0 6D000015
	ds_read_b32 v112, v21 offset:17408                         // 00000000CF4C: D86C4400 70000015
	ds_read_b32 v113, v21 offset:17472                         // 00000000CF54: D86C4440 71000015
	ds_read_b32 v116, v21 offset:19584                         // 00000000CF5C: D86C4C80 74000015
	ds_read_b32 v117, v21 offset:19648                         // 00000000CF64: D86C4CC0 75000015
	ds_read_b32 v120, v21 offset:21760                         // 00000000CF6C: D86C5500 78000015
	ds_read_b32 v121, v21 offset:21824                         // 00000000CF74: D86C5540 79000015
	ds_read_b32 v124, v21 offset:23936                         // 00000000CF7C: D86C5D80 7C000015
	ds_read_b32 v125, v21 offset:24000                         // 00000000CF84: D86C5DC0 7D000015
	ds_read_b32 v128, v21 offset:26112                         // 00000000CF8C: D86C6600 80000015
	ds_read_b32 v129, v21 offset:26176                         // 00000000CF94: D86C6640 81000015
	ds_read_b32 v132, v21 offset:28288                         // 00000000CF9C: D86C6E80 84000015
	ds_read_b32 v133, v21 offset:28352                         // 00000000CFA4: D86C6EC0 85000015
	ds_read_b32 v136, v21 offset:30464                         // 00000000CFAC: D86C7700 88000015
	ds_read_b32 v137, v21 offset:30528                         // 00000000CFB4: D86C7740 89000015
	ds_read_b32 v140, v21 offset:32640                         // 00000000CFBC: D86C7F80 8C000015
	ds_read_b32 v141, v21 offset:32704                         // 00000000CFC4: D86C7FC0 8D000015
	s_waitcnt lgkmcnt(0)                                       // 00000000CFCC: BF8CC07F
	s_mov_b32 s36, -1                                          // 00000000CFD0: BEA400C1
	s_mov_b32 s37, -1                                          // 00000000CFD4: BEA500C1
	v_mov_b32_e32 v7, 0                                        // 00000000CFD8: 7E0E0280
	s_mov_b64 exec, s[36:37]                                   // 00000000CFDC: BEFE0124
	v_mov_b32_e32 v6, v60                                      // 00000000CFE0: 7E0C033C
	s_mov_b64 s[60:61], 0                                      // 00000000CFE4: BEBC0180
	v_readlane_b32 s82, v3, 0                                  // 00000000CFE8: D2890052 00010103
	s_and_b32 s82, s82, 0xffffff                               // 00000000CFF0: 8652FF52 00FFFFFF
	s_cmp_lt_u32 s82, s66                                      // 00000000CFF8: BF0A4252
	s_cselect_b32 s20, s36, s60                                // 00000000CFFC: 85143C24
	v_readlane_b32 s82, v3, 1                                  // 00000000D000: D2890052 00010303
	s_and_b32 s82, s82, 0xffffff                               // 00000000D008: 8652FF52 00FFFFFF
	s_cmp_lt_u32 s82, s66                                      // 00000000D010: BF0A4252
	s_cselect_b32 s21, s36, s60                                // 00000000D014: 85153C24
	s_mov_b64 exec, s[20:21]                                   // 00000000D018: BEFE0114
	global_atomic_add_f32 v6, v80, s[8:9]                      // 00000000D01C: DD348000 00085006
	global_atomic_add_f32 v6, v84, s[8:9] offset:256           // 00000000D024: DD348100 00085406
	s_mov_b64 exec, s[36:37]                                   // 00000000D02C: BEFE0124
	v_mov_b32_e32 v6, v61                                      // 00000000D030: 7E0C033D
	s_mov_b64 s[60:61], 0                                      // 00000000D034: BEBC0180
	v_readlane_b32 s82, v3, 2                                  // 00000000D038: D2890052 00010503
	s_and_b32 s82, s82, 0xffffff                               // 00000000D040: 8652FF52 00FFFFFF
	s_cmp_lt_u32 s82, s66                                      // 00000000D048: BF0A4252
	s_cselect_b32 s20, s36, s60                                // 00000000D04C: 85143C24
	v_readlane_b32 s82, v3, 3                                  // 00000000D050: D2890052 00010703
	s_and_b32 s82, s82, 0xffffff                               // 00000000D058: 8652FF52 00FFFFFF
	s_cmp_lt_u32 s82, s66                                      // 00000000D060: BF0A4252
	s_cselect_b32 s21, s36, s60                                // 00000000D064: 85153C24
	s_mov_b64 exec, s[20:21]                                   // 00000000D068: BEFE0114
	global_atomic_add_f32 v6, v81, s[8:9]                      // 00000000D06C: DD348000 00085106
	global_atomic_add_f32 v6, v85, s[8:9] offset:256           // 00000000D074: DD348100 00085506
	s_mov_b64 exec, s[36:37]                                   // 00000000D07C: BEFE0124
	v_mov_b32_e32 v6, v62                                      // 00000000D080: 7E0C033E
	s_mov_b64 s[60:61], 0                                      // 00000000D084: BEBC0180
	v_readlane_b32 s82, v3, 4                                  // 00000000D088: D2890052 00010903
	s_and_b32 s82, s82, 0xffffff                               // 00000000D090: 8652FF52 00FFFFFF
	s_cmp_lt_u32 s82, s66                                      // 00000000D098: BF0A4252
	s_cselect_b32 s20, s36, s60                                // 00000000D09C: 85143C24
	v_readlane_b32 s82, v3, 5                                  // 00000000D0A0: D2890052 00010B03
	s_and_b32 s82, s82, 0xffffff                               // 00000000D0A8: 8652FF52 00FFFFFF
	s_cmp_lt_u32 s82, s66                                      // 00000000D0B0: BF0A4252
	s_cselect_b32 s21, s36, s60                                // 00000000D0B4: 85153C24
	s_mov_b64 exec, s[20:21]                                   // 00000000D0B8: BEFE0114
	global_atomic_add_f32 v6, v88, s[8:9]                      // 00000000D0BC: DD348000 00085806
	global_atomic_add_f32 v6, v92, s[8:9] offset:256           // 00000000D0C4: DD348100 00085C06
	s_mov_b64 exec, s[36:37]                                   // 00000000D0CC: BEFE0124
	v_mov_b32_e32 v6, v63                                      // 00000000D0D0: 7E0C033F
	s_mov_b64 s[60:61], 0                                      // 00000000D0D4: BEBC0180
	v_readlane_b32 s82, v3, 6                                  // 00000000D0D8: D2890052 00010D03
	s_and_b32 s82, s82, 0xffffff                               // 00000000D0E0: 8652FF52 00FFFFFF
	s_cmp_lt_u32 s82, s66                                      // 00000000D0E8: BF0A4252
	s_cselect_b32 s20, s36, s60                                // 00000000D0EC: 85143C24
	v_readlane_b32 s82, v3, 7                                  // 00000000D0F0: D2890052 00010F03
	s_and_b32 s82, s82, 0xffffff                               // 00000000D0F8: 8652FF52 00FFFFFF
	s_cmp_lt_u32 s82, s66                                      // 00000000D100: BF0A4252
	s_cselect_b32 s21, s36, s60                                // 00000000D104: 85153C24
	s_mov_b64 exec, s[20:21]                                   // 00000000D108: BEFE0114
	global_atomic_add_f32 v6, v89, s[8:9]                      // 00000000D10C: DD348000 00085906
	global_atomic_add_f32 v6, v93, s[8:9] offset:256           // 00000000D114: DD348100 00085D06
	s_mov_b64 exec, s[36:37]                                   // 00000000D11C: BEFE0124
	v_mov_b32_e32 v6, v64                                      // 00000000D120: 7E0C0340
	s_mov_b64 s[60:61], 0                                      // 00000000D124: BEBC0180
	v_readlane_b32 s82, v3, 8                                  // 00000000D128: D2890052 00011103
	s_and_b32 s82, s82, 0xffffff                               // 00000000D130: 8652FF52 00FFFFFF
	s_cmp_lt_u32 s82, s66                                      // 00000000D138: BF0A4252
	s_cselect_b32 s20, s36, s60                                // 00000000D13C: 85143C24
	v_readlane_b32 s82, v3, 9                                  // 00000000D140: D2890052 00011303
	s_and_b32 s82, s82, 0xffffff                               // 00000000D148: 8652FF52 00FFFFFF
	s_cmp_lt_u32 s82, s66                                      // 00000000D150: BF0A4252
	s_cselect_b32 s21, s36, s60                                // 00000000D154: 85153C24
	s_mov_b64 exec, s[20:21]                                   // 00000000D158: BEFE0114
	global_atomic_add_f32 v6, v96, s[8:9]                      // 00000000D15C: DD348000 00086006
	global_atomic_add_f32 v6, v100, s[8:9] offset:256          // 00000000D164: DD348100 00086406
	s_mov_b64 exec, s[36:37]                                   // 00000000D16C: BEFE0124
	v_mov_b32_e32 v6, v65                                      // 00000000D170: 7E0C0341
	s_mov_b64 s[60:61], 0                                      // 00000000D174: BEBC0180
	v_readlane_b32 s82, v3, 10                                 // 00000000D178: D2890052 00011503
	s_and_b32 s82, s82, 0xffffff                               // 00000000D180: 8652FF52 00FFFFFF
	s_cmp_lt_u32 s82, s66                                      // 00000000D188: BF0A4252
	s_cselect_b32 s20, s36, s60                                // 00000000D18C: 85143C24
	v_readlane_b32 s82, v3, 11                                 // 00000000D190: D2890052 00011703
	s_and_b32 s82, s82, 0xffffff                               // 00000000D198: 8652FF52 00FFFFFF
	s_cmp_lt_u32 s82, s66                                      // 00000000D1A0: BF0A4252
	s_cselect_b32 s21, s36, s60                                // 00000000D1A4: 85153C24
	s_mov_b64 exec, s[20:21]                                   // 00000000D1A8: BEFE0114
	global_atomic_add_f32 v6, v97, s[8:9]                      // 00000000D1AC: DD348000 00086106
	global_atomic_add_f32 v6, v101, s[8:9] offset:256          // 00000000D1B4: DD348100 00086506
	s_mov_b64 exec, s[36:37]                                   // 00000000D1BC: BEFE0124
	v_mov_b32_e32 v6, v66                                      // 00000000D1C0: 7E0C0342
	s_mov_b64 s[60:61], 0                                      // 00000000D1C4: BEBC0180
	v_readlane_b32 s82, v3, 12                                 // 00000000D1C8: D2890052 00011903
	s_and_b32 s82, s82, 0xffffff                               // 00000000D1D0: 8652FF52 00FFFFFF
	s_cmp_lt_u32 s82, s66                                      // 00000000D1D8: BF0A4252
	s_cselect_b32 s20, s36, s60                                // 00000000D1DC: 85143C24
	v_readlane_b32 s82, v3, 13                                 // 00000000D1E0: D2890052 00011B03
	s_and_b32 s82, s82, 0xffffff                               // 00000000D1E8: 8652FF52 00FFFFFF
	s_cmp_lt_u32 s82, s66                                      // 00000000D1F0: BF0A4252
	s_cselect_b32 s21, s36, s60                                // 00000000D1F4: 85153C24
	s_mov_b64 exec, s[20:21]                                   // 00000000D1F8: BEFE0114
	global_atomic_add_f32 v6, v104, s[8:9]                     // 00000000D1FC: DD348000 00086806
	global_atomic_add_f32 v6, v108, s[8:9] offset:256          // 00000000D204: DD348100 00086C06
	s_mov_b64 exec, s[36:37]                                   // 00000000D20C: BEFE0124
	v_mov_b32_e32 v6, v67                                      // 00000000D210: 7E0C0343
	s_mov_b64 s[60:61], 0                                      // 00000000D214: BEBC0180
	v_readlane_b32 s82, v3, 14                                 // 00000000D218: D2890052 00011D03
	s_and_b32 s82, s82, 0xffffff                               // 00000000D220: 8652FF52 00FFFFFF
	s_cmp_lt_u32 s82, s66                                      // 00000000D228: BF0A4252
	s_cselect_b32 s20, s36, s60                                // 00000000D22C: 85143C24
	v_readlane_b32 s82, v3, 15                                 // 00000000D230: D2890052 00011F03
	s_and_b32 s82, s82, 0xffffff                               // 00000000D238: 8652FF52 00FFFFFF
	s_cmp_lt_u32 s82, s66                                      // 00000000D240: BF0A4252
	s_cselect_b32 s21, s36, s60                                // 00000000D244: 85153C24
	s_mov_b64 exec, s[20:21]                                   // 00000000D248: BEFE0114
	global_atomic_add_f32 v6, v105, s[8:9]                     // 00000000D24C: DD348000 00086906
	global_atomic_add_f32 v6, v109, s[8:9] offset:256          // 00000000D254: DD348100 00086D06
	s_mov_b64 exec, s[36:37]                                   // 00000000D25C: BEFE0124
	v_mov_b32_e32 v6, v68                                      // 00000000D260: 7E0C0344
	s_mov_b64 s[60:61], 0                                      // 00000000D264: BEBC0180
	v_readlane_b32 s82, v3, 16                                 // 00000000D268: D2890052 00012103
	s_and_b32 s82, s82, 0xffffff                               // 00000000D270: 8652FF52 00FFFFFF
	s_cmp_lt_u32 s82, s66                                      // 00000000D278: BF0A4252
	s_cselect_b32 s20, s36, s60                                // 00000000D27C: 85143C24
	v_readlane_b32 s82, v3, 17                                 // 00000000D280: D2890052 00012303
	s_and_b32 s82, s82, 0xffffff                               // 00000000D288: 8652FF52 00FFFFFF
	s_cmp_lt_u32 s82, s66                                      // 00000000D290: BF0A4252
	s_cselect_b32 s21, s36, s60                                // 00000000D294: 85153C24
	s_mov_b64 exec, s[20:21]                                   // 00000000D298: BEFE0114
	global_atomic_add_f32 v6, v112, s[8:9]                     // 00000000D29C: DD348000 00087006
	global_atomic_add_f32 v6, v116, s[8:9] offset:256          // 00000000D2A4: DD348100 00087406
	s_mov_b64 exec, s[36:37]                                   // 00000000D2AC: BEFE0124
	v_mov_b32_e32 v6, v69                                      // 00000000D2B0: 7E0C0345
	s_mov_b64 s[60:61], 0                                      // 00000000D2B4: BEBC0180
	v_readlane_b32 s82, v3, 18                                 // 00000000D2B8: D2890052 00012503
	s_and_b32 s82, s82, 0xffffff                               // 00000000D2C0: 8652FF52 00FFFFFF
	s_cmp_lt_u32 s82, s66                                      // 00000000D2C8: BF0A4252
	s_cselect_b32 s20, s36, s60                                // 00000000D2CC: 85143C24
	v_readlane_b32 s82, v3, 19                                 // 00000000D2D0: D2890052 00012703
	s_and_b32 s82, s82, 0xffffff                               // 00000000D2D8: 8652FF52 00FFFFFF
	s_cmp_lt_u32 s82, s66                                      // 00000000D2E0: BF0A4252
	s_cselect_b32 s21, s36, s60                                // 00000000D2E4: 85153C24
	s_mov_b64 exec, s[20:21]                                   // 00000000D2E8: BEFE0114
	global_atomic_add_f32 v6, v113, s[8:9]                     // 00000000D2EC: DD348000 00087106
	global_atomic_add_f32 v6, v117, s[8:9] offset:256          // 00000000D2F4: DD348100 00087506
	s_mov_b64 exec, s[36:37]                                   // 00000000D2FC: BEFE0124
	v_mov_b32_e32 v6, v70                                      // 00000000D300: 7E0C0346
	s_mov_b64 s[60:61], 0                                      // 00000000D304: BEBC0180
	v_readlane_b32 s82, v3, 20                                 // 00000000D308: D2890052 00012903
	s_and_b32 s82, s82, 0xffffff                               // 00000000D310: 8652FF52 00FFFFFF
	s_cmp_lt_u32 s82, s66                                      // 00000000D318: BF0A4252
	s_cselect_b32 s20, s36, s60                                // 00000000D31C: 85143C24
	v_readlane_b32 s82, v3, 21                                 // 00000000D320: D2890052 00012B03
	s_and_b32 s82, s82, 0xffffff                               // 00000000D328: 8652FF52 00FFFFFF
	s_cmp_lt_u32 s82, s66                                      // 00000000D330: BF0A4252
	s_cselect_b32 s21, s36, s60                                // 00000000D334: 85153C24
	s_mov_b64 exec, s[20:21]                                   // 00000000D338: BEFE0114
	global_atomic_add_f32 v6, v120, s[8:9]                     // 00000000D33C: DD348000 00087806
	global_atomic_add_f32 v6, v124, s[8:9] offset:256          // 00000000D344: DD348100 00087C06
	s_mov_b64 exec, s[36:37]                                   // 00000000D34C: BEFE0124
	v_mov_b32_e32 v6, v71                                      // 00000000D350: 7E0C0347
	s_mov_b64 s[60:61], 0                                      // 00000000D354: BEBC0180
	v_readlane_b32 s82, v3, 22                                 // 00000000D358: D2890052 00012D03
	s_and_b32 s82, s82, 0xffffff                               // 00000000D360: 8652FF52 00FFFFFF
	s_cmp_lt_u32 s82, s66                                      // 00000000D368: BF0A4252
	s_cselect_b32 s20, s36, s60                                // 00000000D36C: 85143C24
	v_readlane_b32 s82, v3, 23                                 // 00000000D370: D2890052 00012F03
	s_and_b32 s82, s82, 0xffffff                               // 00000000D378: 8652FF52 00FFFFFF
	s_cmp_lt_u32 s82, s66                                      // 00000000D380: BF0A4252
	s_cselect_b32 s21, s36, s60                                // 00000000D384: 85153C24
	s_mov_b64 exec, s[20:21]                                   // 00000000D388: BEFE0114
	global_atomic_add_f32 v6, v121, s[8:9]                     // 00000000D38C: DD348000 00087906
	global_atomic_add_f32 v6, v125, s[8:9] offset:256          // 00000000D394: DD348100 00087D06
	s_mov_b64 exec, s[36:37]                                   // 00000000D39C: BEFE0124
	v_mov_b32_e32 v6, v72                                      // 00000000D3A0: 7E0C0348
	s_mov_b64 s[60:61], 0                                      // 00000000D3A4: BEBC0180
	v_readlane_b32 s82, v3, 24                                 // 00000000D3A8: D2890052 00013103
	s_and_b32 s82, s82, 0xffffff                               // 00000000D3B0: 8652FF52 00FFFFFF
	s_cmp_lt_u32 s82, s66                                      // 00000000D3B8: BF0A4252
	s_cselect_b32 s20, s36, s60                                // 00000000D3BC: 85143C24
	v_readlane_b32 s82, v3, 25                                 // 00000000D3C0: D2890052 00013303
	s_and_b32 s82, s82, 0xffffff                               // 00000000D3C8: 8652FF52 00FFFFFF
	s_cmp_lt_u32 s82, s66                                      // 00000000D3D0: BF0A4252
	s_cselect_b32 s21, s36, s60                                // 00000000D3D4: 85153C24
	s_mov_b64 exec, s[20:21]                                   // 00000000D3D8: BEFE0114
	global_atomic_add_f32 v6, v128, s[8:9]                     // 00000000D3DC: DD348000 00088006
	global_atomic_add_f32 v6, v132, s[8:9] offset:256          // 00000000D3E4: DD348100 00088406
	s_mov_b64 exec, s[36:37]                                   // 00000000D3EC: BEFE0124
	v_mov_b32_e32 v6, v73                                      // 00000000D3F0: 7E0C0349
	s_mov_b64 s[60:61], 0                                      // 00000000D3F4: BEBC0180
	v_readlane_b32 s82, v3, 26                                 // 00000000D3F8: D2890052 00013503
	s_and_b32 s82, s82, 0xffffff                               // 00000000D400: 8652FF52 00FFFFFF
	s_cmp_lt_u32 s82, s66                                      // 00000000D408: BF0A4252
	s_cselect_b32 s20, s36, s60                                // 00000000D40C: 85143C24
	v_readlane_b32 s82, v3, 27                                 // 00000000D410: D2890052 00013703
	s_and_b32 s82, s82, 0xffffff                               // 00000000D418: 8652FF52 00FFFFFF
	s_cmp_lt_u32 s82, s66                                      // 00000000D420: BF0A4252
	s_cselect_b32 s21, s36, s60                                // 00000000D424: 85153C24
	s_mov_b64 exec, s[20:21]                                   // 00000000D428: BEFE0114
	global_atomic_add_f32 v6, v129, s[8:9]                     // 00000000D42C: DD348000 00088106
	global_atomic_add_f32 v6, v133, s[8:9] offset:256          // 00000000D434: DD348100 00088506
	s_mov_b64 exec, s[36:37]                                   // 00000000D43C: BEFE0124
	v_mov_b32_e32 v6, v74                                      // 00000000D440: 7E0C034A
	s_mov_b64 s[60:61], 0                                      // 00000000D444: BEBC0180
	v_readlane_b32 s82, v3, 28                                 // 00000000D448: D2890052 00013903
	s_and_b32 s82, s82, 0xffffff                               // 00000000D450: 8652FF52 00FFFFFF
	s_cmp_lt_u32 s82, s66                                      // 00000000D458: BF0A4252
	s_cselect_b32 s20, s36, s60                                // 00000000D45C: 85143C24
	v_readlane_b32 s82, v3, 29                                 // 00000000D460: D2890052 00013B03
	s_and_b32 s82, s82, 0xffffff                               // 00000000D468: 8652FF52 00FFFFFF
	s_cmp_lt_u32 s82, s66                                      // 00000000D470: BF0A4252
	s_cselect_b32 s21, s36, s60                                // 00000000D474: 85153C24
	s_mov_b64 exec, s[20:21]                                   // 00000000D478: BEFE0114
	global_atomic_add_f32 v6, v136, s[8:9]                     // 00000000D47C: DD348000 00088806
	global_atomic_add_f32 v6, v140, s[8:9] offset:256          // 00000000D484: DD348100 00088C06
	s_mov_b64 exec, s[36:37]                                   // 00000000D48C: BEFE0124
	v_mov_b32_e32 v6, v75                                      // 00000000D490: 7E0C034B
	s_mov_b64 s[60:61], 0                                      // 00000000D494: BEBC0180
	v_readlane_b32 s82, v3, 30                                 // 00000000D498: D2890052 00013D03
	s_and_b32 s82, s82, 0xffffff                               // 00000000D4A0: 8652FF52 00FFFFFF
	s_cmp_lt_u32 s82, s66                                      // 00000000D4A8: BF0A4252
	s_cselect_b32 s20, s36, s60                                // 00000000D4AC: 85143C24
	v_readlane_b32 s82, v3, 31                                 // 00000000D4B0: D2890052 00013F03
	s_and_b32 s82, s82, 0xffffff                               // 00000000D4B8: 8652FF52 00FFFFFF
	s_cmp_lt_u32 s82, s66                                      // 00000000D4C0: BF0A4252
	s_cselect_b32 s21, s36, s60                                // 00000000D4C4: 85153C24
	s_mov_b64 exec, s[20:21]                                   // 00000000D4C8: BEFE0114
	global_atomic_add_f32 v6, v137, s[8:9]                     // 00000000D4CC: DD348000 00088906
	global_atomic_add_f32 v6, v141, s[8:9] offset:256          // 00000000D4D4: DD348100 00088D06
	s_mov_b64 exec, s[36:37]                                   // 00000000D4DC: BEFE0124
	ds_write_b64 v20, v[82:83]                                 // 00000000D4E0: D89A0000 00005214
	ds_write_b64 v20, v[86:87] offset:4352                     // 00000000D4E8: D89A1100 00005614
	ds_write_b64 v20, v[90:91] offset:8704                     // 00000000D4F0: D89A2200 00005A14
	ds_write_b64 v20, v[94:95] offset:13056                    // 00000000D4F8: D89A3300 00005E14
	ds_write_b64 v20, v[98:99] offset:17408                    // 00000000D500: D89A4400 00006214
	ds_write_b64 v20, v[102:103] offset:21760                  // 00000000D508: D89A5500 00006614
	ds_write_b64 v20, v[106:107] offset:26112                  // 00000000D510: D89A6600 00006A14
	ds_write_b64 v20, v[110:111] offset:30464                  // 00000000D518: D89A7700 00006E14
	ds_write_b64 v20, v[114:115] offset:2176                   // 00000000D520: D89A0880 00007214
	ds_write_b64 v20, v[118:119] offset:6528                   // 00000000D528: D89A1980 00007614
	ds_write_b64 v20, v[122:123] offset:10880                  // 00000000D530: D89A2A80 00007A14
	ds_write_b64 v20, v[126:127] offset:15232                  // 00000000D538: D89A3B80 00007E14
	ds_write_b64 v20, v[130:131] offset:19584                  // 00000000D540: D89A4C80 00008214
	ds_write_b64 v20, v[134:135] offset:23936                  // 00000000D548: D89A5D80 00008614
	ds_write_b64 v20, v[138:139] offset:28288                  // 00000000D550: D89A6E80 00008A14
	ds_write_b64 v20, v[142:143] offset:32640                  // 00000000D558: D89A7F80 00008E14
	s_waitcnt lgkmcnt(0)                                       // 00000000D560: BF8CC07F
	s_barrier                                                  // 00000000D564: BF8A0000
	ds_read_b32 v82, v21                                       // 00000000D568: D86C0000 52000015
	ds_read_b32 v83, v21 offset:64                             // 00000000D570: D86C0040 53000015
	ds_read_b32 v86, v21 offset:2176                           // 00000000D578: D86C0880 56000015
	ds_read_b32 v87, v21 offset:2240                           // 00000000D580: D86C08C0 57000015
	ds_read_b32 v90, v21 offset:4352                           // 00000000D588: D86C1100 5A000015
	ds_read_b32 v91, v21 offset:4416                           // 00000000D590: D86C1140 5B000015
	ds_read_b32 v94, v21 offset:6528                           // 00000000D598: D86C1980 5E000015
	ds_read_b32 v95, v21 offset:6592                           // 00000000D5A0: D86C19C0 5F000015
	ds_read_b32 v98, v21 offset:8704                           // 00000000D5A8: D86C2200 62000015
	ds_read_b32 v99, v21 offset:8768                           // 00000000D5B0: D86C2240 63000015
	ds_read_b32 v102, v21 offset:10880                         // 00000000D5B8: D86C2A80 66000015
	ds_read_b32 v103, v21 offset:10944                         // 00000000D5C0: D86C2AC0 67000015
	ds_read_b32 v106, v21 offset:13056                         // 00000000D5C8: D86C3300 6A000015
	ds_read_b32 v107, v21 offset:13120                         // 00000000D5D0: D86C3340 6B000015
	ds_read_b32 v110, v21 offset:15232                         // 00000000D5D8: D86C3B80 6E000015
	ds_read_b32 v111, v21 offset:15296                         // 00000000D5E0: D86C3BC0 6F000015
	ds_read_b32 v114, v21 offset:17408                         // 00000000D5E8: D86C4400 72000015
	ds_read_b32 v115, v21 offset:17472                         // 00000000D5F0: D86C4440 73000015
	ds_read_b32 v118, v21 offset:19584                         // 00000000D5F8: D86C4C80 76000015
	ds_read_b32 v119, v21 offset:19648                         // 00000000D600: D86C4CC0 77000015
	ds_read_b32 v122, v21 offset:21760                         // 00000000D608: D86C5500 7A000015
	ds_read_b32 v123, v21 offset:21824                         // 00000000D610: D86C5540 7B000015
	ds_read_b32 v126, v21 offset:23936                         // 00000000D618: D86C5D80 7E000015
	ds_read_b32 v127, v21 offset:24000                         // 00000000D620: D86C5DC0 7F000015
	ds_read_b32 v130, v21 offset:26112                         // 00000000D628: D86C6600 82000015
	ds_read_b32 v131, v21 offset:26176                         // 00000000D630: D86C6640 83000015
	ds_read_b32 v134, v21 offset:28288                         // 00000000D638: D86C6E80 86000015
	ds_read_b32 v135, v21 offset:28352                         // 00000000D640: D86C6EC0 87000015
	ds_read_b32 v138, v21 offset:30464                         // 00000000D648: D86C7700 8A000015
	ds_read_b32 v139, v21 offset:30528                         // 00000000D650: D86C7740 8B000015
	ds_read_b32 v142, v21 offset:32640                         // 00000000D658: D86C7F80 8E000015
	ds_read_b32 v143, v21 offset:32704                         // 00000000D660: D86C7FC0 8F000015
	s_waitcnt lgkmcnt(0)                                       // 00000000D668: BF8CC07F
	v_mov_b32_e32 v7, 0                                        // 00000000D66C: 7E0E0280
	s_mov_b64 exec, s[36:37]                                   // 00000000D670: BEFE0124
	v_mov_b32_e32 v6, v60                                      // 00000000D674: 7E0C033C
	s_mov_b64 s[60:61], 0                                      // 00000000D678: BEBC0180
	v_readlane_b32 s82, v3, 0                                  // 00000000D67C: D2890052 00010103
	s_and_b32 s82, s82, 0xffffff                               // 00000000D684: 8652FF52 00FFFFFF
	s_cmp_lt_u32 s82, s66                                      // 00000000D68C: BF0A4252
	s_cselect_b32 s20, s36, s60                                // 00000000D690: 85143C24
	v_readlane_b32 s82, v3, 1                                  // 00000000D694: D2890052 00010303
	s_and_b32 s82, s82, 0xffffff                               // 00000000D69C: 8652FF52 00FFFFFF
	s_cmp_lt_u32 s82, s66                                      // 00000000D6A4: BF0A4252
	s_cselect_b32 s21, s36, s60                                // 00000000D6A8: 85153C24
	s_mov_b64 exec, s[20:21]                                   // 00000000D6AC: BEFE0114
	global_atomic_add_f32 v6, v82, s[8:9] offset:8             // 00000000D6B0: DD348008 00085206
	global_atomic_add_f32 v6, v86, s[8:9] offset:264           // 00000000D6B8: DD348108 00085606
	s_mov_b64 exec, s[36:37]                                   // 00000000D6C0: BEFE0124
	v_mov_b32_e32 v6, v61                                      // 00000000D6C4: 7E0C033D
	s_mov_b64 s[60:61], 0                                      // 00000000D6C8: BEBC0180
	v_readlane_b32 s82, v3, 2                                  // 00000000D6CC: D2890052 00010503
	s_and_b32 s82, s82, 0xffffff                               // 00000000D6D4: 8652FF52 00FFFFFF
	s_cmp_lt_u32 s82, s66                                      // 00000000D6DC: BF0A4252
	s_cselect_b32 s20, s36, s60                                // 00000000D6E0: 85143C24
	v_readlane_b32 s82, v3, 3                                  // 00000000D6E4: D2890052 00010703
	s_and_b32 s82, s82, 0xffffff                               // 00000000D6EC: 8652FF52 00FFFFFF
	s_cmp_lt_u32 s82, s66                                      // 00000000D6F4: BF0A4252
	s_cselect_b32 s21, s36, s60                                // 00000000D6F8: 85153C24
	s_mov_b64 exec, s[20:21]                                   // 00000000D6FC: BEFE0114
	global_atomic_add_f32 v6, v83, s[8:9] offset:8             // 00000000D700: DD348008 00085306
	global_atomic_add_f32 v6, v87, s[8:9] offset:264           // 00000000D708: DD348108 00085706
	s_mov_b64 exec, s[36:37]                                   // 00000000D710: BEFE0124
	v_mov_b32_e32 v6, v62                                      // 00000000D714: 7E0C033E
	s_mov_b64 s[60:61], 0                                      // 00000000D718: BEBC0180
	v_readlane_b32 s82, v3, 4                                  // 00000000D71C: D2890052 00010903
	s_and_b32 s82, s82, 0xffffff                               // 00000000D724: 8652FF52 00FFFFFF
	s_cmp_lt_u32 s82, s66                                      // 00000000D72C: BF0A4252
	s_cselect_b32 s20, s36, s60                                // 00000000D730: 85143C24
	v_readlane_b32 s82, v3, 5                                  // 00000000D734: D2890052 00010B03
	s_and_b32 s82, s82, 0xffffff                               // 00000000D73C: 8652FF52 00FFFFFF
	s_cmp_lt_u32 s82, s66                                      // 00000000D744: BF0A4252
	s_cselect_b32 s21, s36, s60                                // 00000000D748: 85153C24
	s_mov_b64 exec, s[20:21]                                   // 00000000D74C: BEFE0114
	global_atomic_add_f32 v6, v90, s[8:9] offset:8             // 00000000D750: DD348008 00085A06
	global_atomic_add_f32 v6, v94, s[8:9] offset:264           // 00000000D758: DD348108 00085E06
	s_mov_b64 exec, s[36:37]                                   // 00000000D760: BEFE0124
	v_mov_b32_e32 v6, v63                                      // 00000000D764: 7E0C033F
	s_mov_b64 s[60:61], 0                                      // 00000000D768: BEBC0180
	v_readlane_b32 s82, v3, 6                                  // 00000000D76C: D2890052 00010D03
	s_and_b32 s82, s82, 0xffffff                               // 00000000D774: 8652FF52 00FFFFFF
	s_cmp_lt_u32 s82, s66                                      // 00000000D77C: BF0A4252
	s_cselect_b32 s20, s36, s60                                // 00000000D780: 85143C24
	v_readlane_b32 s82, v3, 7                                  // 00000000D784: D2890052 00010F03
	s_and_b32 s82, s82, 0xffffff                               // 00000000D78C: 8652FF52 00FFFFFF
	s_cmp_lt_u32 s82, s66                                      // 00000000D794: BF0A4252
	s_cselect_b32 s21, s36, s60                                // 00000000D798: 85153C24
	s_mov_b64 exec, s[20:21]                                   // 00000000D79C: BEFE0114
	global_atomic_add_f32 v6, v91, s[8:9] offset:8             // 00000000D7A0: DD348008 00085B06
	global_atomic_add_f32 v6, v95, s[8:9] offset:264           // 00000000D7A8: DD348108 00085F06
	s_mov_b64 exec, s[36:37]                                   // 00000000D7B0: BEFE0124
	v_mov_b32_e32 v6, v64                                      // 00000000D7B4: 7E0C0340
	s_mov_b64 s[60:61], 0                                      // 00000000D7B8: BEBC0180
	v_readlane_b32 s82, v3, 8                                  // 00000000D7BC: D2890052 00011103
	s_and_b32 s82, s82, 0xffffff                               // 00000000D7C4: 8652FF52 00FFFFFF
	s_cmp_lt_u32 s82, s66                                      // 00000000D7CC: BF0A4252
	s_cselect_b32 s20, s36, s60                                // 00000000D7D0: 85143C24
	v_readlane_b32 s82, v3, 9                                  // 00000000D7D4: D2890052 00011303
	s_and_b32 s82, s82, 0xffffff                               // 00000000D7DC: 8652FF52 00FFFFFF
	s_cmp_lt_u32 s82, s66                                      // 00000000D7E4: BF0A4252
	s_cselect_b32 s21, s36, s60                                // 00000000D7E8: 85153C24
	s_mov_b64 exec, s[20:21]                                   // 00000000D7EC: BEFE0114
	global_atomic_add_f32 v6, v98, s[8:9] offset:8             // 00000000D7F0: DD348008 00086206
	global_atomic_add_f32 v6, v102, s[8:9] offset:264          // 00000000D7F8: DD348108 00086606
	s_mov_b64 exec, s[36:37]                                   // 00000000D800: BEFE0124
	v_mov_b32_e32 v6, v65                                      // 00000000D804: 7E0C0341
	s_mov_b64 s[60:61], 0                                      // 00000000D808: BEBC0180
	v_readlane_b32 s82, v3, 10                                 // 00000000D80C: D2890052 00011503
	s_and_b32 s82, s82, 0xffffff                               // 00000000D814: 8652FF52 00FFFFFF
	s_cmp_lt_u32 s82, s66                                      // 00000000D81C: BF0A4252
	s_cselect_b32 s20, s36, s60                                // 00000000D820: 85143C24
	v_readlane_b32 s82, v3, 11                                 // 00000000D824: D2890052 00011703
	s_and_b32 s82, s82, 0xffffff                               // 00000000D82C: 8652FF52 00FFFFFF
	s_cmp_lt_u32 s82, s66                                      // 00000000D834: BF0A4252
	s_cselect_b32 s21, s36, s60                                // 00000000D838: 85153C24
	s_mov_b64 exec, s[20:21]                                   // 00000000D83C: BEFE0114
	global_atomic_add_f32 v6, v99, s[8:9] offset:8             // 00000000D840: DD348008 00086306
	global_atomic_add_f32 v6, v103, s[8:9] offset:264          // 00000000D848: DD348108 00086706
	s_mov_b64 exec, s[36:37]                                   // 00000000D850: BEFE0124
	v_mov_b32_e32 v6, v66                                      // 00000000D854: 7E0C0342
	s_mov_b64 s[60:61], 0                                      // 00000000D858: BEBC0180
	v_readlane_b32 s82, v3, 12                                 // 00000000D85C: D2890052 00011903
	s_and_b32 s82, s82, 0xffffff                               // 00000000D864: 8652FF52 00FFFFFF
	s_cmp_lt_u32 s82, s66                                      // 00000000D86C: BF0A4252
	s_cselect_b32 s20, s36, s60                                // 00000000D870: 85143C24
	v_readlane_b32 s82, v3, 13                                 // 00000000D874: D2890052 00011B03
	s_and_b32 s82, s82, 0xffffff                               // 00000000D87C: 8652FF52 00FFFFFF
	s_cmp_lt_u32 s82, s66                                      // 00000000D884: BF0A4252
	s_cselect_b32 s21, s36, s60                                // 00000000D888: 85153C24
	s_mov_b64 exec, s[20:21]                                   // 00000000D88C: BEFE0114
	global_atomic_add_f32 v6, v106, s[8:9] offset:8            // 00000000D890: DD348008 00086A06
	global_atomic_add_f32 v6, v110, s[8:9] offset:264          // 00000000D898: DD348108 00086E06
	s_mov_b64 exec, s[36:37]                                   // 00000000D8A0: BEFE0124
	v_mov_b32_e32 v6, v67                                      // 00000000D8A4: 7E0C0343
	s_mov_b64 s[60:61], 0                                      // 00000000D8A8: BEBC0180
	v_readlane_b32 s82, v3, 14                                 // 00000000D8AC: D2890052 00011D03
	s_and_b32 s82, s82, 0xffffff                               // 00000000D8B4: 8652FF52 00FFFFFF
	s_cmp_lt_u32 s82, s66                                      // 00000000D8BC: BF0A4252
	s_cselect_b32 s20, s36, s60                                // 00000000D8C0: 85143C24
	v_readlane_b32 s82, v3, 15                                 // 00000000D8C4: D2890052 00011F03
	s_and_b32 s82, s82, 0xffffff                               // 00000000D8CC: 8652FF52 00FFFFFF
	s_cmp_lt_u32 s82, s66                                      // 00000000D8D4: BF0A4252
	s_cselect_b32 s21, s36, s60                                // 00000000D8D8: 85153C24
	s_mov_b64 exec, s[20:21]                                   // 00000000D8DC: BEFE0114
	global_atomic_add_f32 v6, v107, s[8:9] offset:8            // 00000000D8E0: DD348008 00086B06
	global_atomic_add_f32 v6, v111, s[8:9] offset:264          // 00000000D8E8: DD348108 00086F06
	s_mov_b64 exec, s[36:37]                                   // 00000000D8F0: BEFE0124
	v_mov_b32_e32 v6, v68                                      // 00000000D8F4: 7E0C0344
	s_mov_b64 s[60:61], 0                                      // 00000000D8F8: BEBC0180
	v_readlane_b32 s82, v3, 16                                 // 00000000D8FC: D2890052 00012103
	s_and_b32 s82, s82, 0xffffff                               // 00000000D904: 8652FF52 00FFFFFF
	s_cmp_lt_u32 s82, s66                                      // 00000000D90C: BF0A4252
	s_cselect_b32 s20, s36, s60                                // 00000000D910: 85143C24
	v_readlane_b32 s82, v3, 17                                 // 00000000D914: D2890052 00012303
	s_and_b32 s82, s82, 0xffffff                               // 00000000D91C: 8652FF52 00FFFFFF
	s_cmp_lt_u32 s82, s66                                      // 00000000D924: BF0A4252
	s_cselect_b32 s21, s36, s60                                // 00000000D928: 85153C24
	s_mov_b64 exec, s[20:21]                                   // 00000000D92C: BEFE0114
	global_atomic_add_f32 v6, v114, s[8:9] offset:8            // 00000000D930: DD348008 00087206
	global_atomic_add_f32 v6, v118, s[8:9] offset:264          // 00000000D938: DD348108 00087606
	s_mov_b64 exec, s[36:37]                                   // 00000000D940: BEFE0124
	v_mov_b32_e32 v6, v69                                      // 00000000D944: 7E0C0345
	s_mov_b64 s[60:61], 0                                      // 00000000D948: BEBC0180
	v_readlane_b32 s82, v3, 18                                 // 00000000D94C: D2890052 00012503
	s_and_b32 s82, s82, 0xffffff                               // 00000000D954: 8652FF52 00FFFFFF
	s_cmp_lt_u32 s82, s66                                      // 00000000D95C: BF0A4252
	s_cselect_b32 s20, s36, s60                                // 00000000D960: 85143C24
	v_readlane_b32 s82, v3, 19                                 // 00000000D964: D2890052 00012703
	s_and_b32 s82, s82, 0xffffff                               // 00000000D96C: 8652FF52 00FFFFFF
	s_cmp_lt_u32 s82, s66                                      // 00000000D974: BF0A4252
	s_cselect_b32 s21, s36, s60                                // 00000000D978: 85153C24
	s_mov_b64 exec, s[20:21]                                   // 00000000D97C: BEFE0114
	global_atomic_add_f32 v6, v115, s[8:9] offset:8            // 00000000D980: DD348008 00087306
	global_atomic_add_f32 v6, v119, s[8:9] offset:264          // 00000000D988: DD348108 00087706
	s_mov_b64 exec, s[36:37]                                   // 00000000D990: BEFE0124
	v_mov_b32_e32 v6, v70                                      // 00000000D994: 7E0C0346
	s_mov_b64 s[60:61], 0                                      // 00000000D998: BEBC0180
	v_readlane_b32 s82, v3, 20                                 // 00000000D99C: D2890052 00012903
	s_and_b32 s82, s82, 0xffffff                               // 00000000D9A4: 8652FF52 00FFFFFF
	s_cmp_lt_u32 s82, s66                                      // 00000000D9AC: BF0A4252
	s_cselect_b32 s20, s36, s60                                // 00000000D9B0: 85143C24
	v_readlane_b32 s82, v3, 21                                 // 00000000D9B4: D2890052 00012B03
	s_and_b32 s82, s82, 0xffffff                               // 00000000D9BC: 8652FF52 00FFFFFF
	s_cmp_lt_u32 s82, s66                                      // 00000000D9C4: BF0A4252
	s_cselect_b32 s21, s36, s60                                // 00000000D9C8: 85153C24
	s_mov_b64 exec, s[20:21]                                   // 00000000D9CC: BEFE0114
	global_atomic_add_f32 v6, v122, s[8:9] offset:8            // 00000000D9D0: DD348008 00087A06
	global_atomic_add_f32 v6, v126, s[8:9] offset:264          // 00000000D9D8: DD348108 00087E06
	s_mov_b64 exec, s[36:37]                                   // 00000000D9E0: BEFE0124
	v_mov_b32_e32 v6, v71                                      // 00000000D9E4: 7E0C0347
	s_mov_b64 s[60:61], 0                                      // 00000000D9E8: BEBC0180
	v_readlane_b32 s82, v3, 22                                 // 00000000D9EC: D2890052 00012D03
	s_and_b32 s82, s82, 0xffffff                               // 00000000D9F4: 8652FF52 00FFFFFF
	s_cmp_lt_u32 s82, s66                                      // 00000000D9FC: BF0A4252
	s_cselect_b32 s20, s36, s60                                // 00000000DA00: 85143C24
	v_readlane_b32 s82, v3, 23                                 // 00000000DA04: D2890052 00012F03
	s_and_b32 s82, s82, 0xffffff                               // 00000000DA0C: 8652FF52 00FFFFFF
	s_cmp_lt_u32 s82, s66                                      // 00000000DA14: BF0A4252
	s_cselect_b32 s21, s36, s60                                // 00000000DA18: 85153C24
	s_mov_b64 exec, s[20:21]                                   // 00000000DA1C: BEFE0114
	global_atomic_add_f32 v6, v123, s[8:9] offset:8            // 00000000DA20: DD348008 00087B06
	global_atomic_add_f32 v6, v127, s[8:9] offset:264          // 00000000DA28: DD348108 00087F06
	s_mov_b64 exec, s[36:37]                                   // 00000000DA30: BEFE0124
	v_mov_b32_e32 v6, v72                                      // 00000000DA34: 7E0C0348
	s_mov_b64 s[60:61], 0                                      // 00000000DA38: BEBC0180
	v_readlane_b32 s82, v3, 24                                 // 00000000DA3C: D2890052 00013103
	s_and_b32 s82, s82, 0xffffff                               // 00000000DA44: 8652FF52 00FFFFFF
	s_cmp_lt_u32 s82, s66                                      // 00000000DA4C: BF0A4252
	s_cselect_b32 s20, s36, s60                                // 00000000DA50: 85143C24
	v_readlane_b32 s82, v3, 25                                 // 00000000DA54: D2890052 00013303
	s_and_b32 s82, s82, 0xffffff                               // 00000000DA5C: 8652FF52 00FFFFFF
	s_cmp_lt_u32 s82, s66                                      // 00000000DA64: BF0A4252
	s_cselect_b32 s21, s36, s60                                // 00000000DA68: 85153C24
	s_mov_b64 exec, s[20:21]                                   // 00000000DA6C: BEFE0114
	global_atomic_add_f32 v6, v130, s[8:9] offset:8            // 00000000DA70: DD348008 00088206
	global_atomic_add_f32 v6, v134, s[8:9] offset:264          // 00000000DA78: DD348108 00088606
	s_mov_b64 exec, s[36:37]                                   // 00000000DA80: BEFE0124
	v_mov_b32_e32 v6, v73                                      // 00000000DA84: 7E0C0349
	s_mov_b64 s[60:61], 0                                      // 00000000DA88: BEBC0180
	v_readlane_b32 s82, v3, 26                                 // 00000000DA8C: D2890052 00013503
	s_and_b32 s82, s82, 0xffffff                               // 00000000DA94: 8652FF52 00FFFFFF
	s_cmp_lt_u32 s82, s66                                      // 00000000DA9C: BF0A4252
	s_cselect_b32 s20, s36, s60                                // 00000000DAA0: 85143C24
	v_readlane_b32 s82, v3, 27                                 // 00000000DAA4: D2890052 00013703
	s_and_b32 s82, s82, 0xffffff                               // 00000000DAAC: 8652FF52 00FFFFFF
	s_cmp_lt_u32 s82, s66                                      // 00000000DAB4: BF0A4252
	s_cselect_b32 s21, s36, s60                                // 00000000DAB8: 85153C24
	s_mov_b64 exec, s[20:21]                                   // 00000000DABC: BEFE0114
	global_atomic_add_f32 v6, v131, s[8:9] offset:8            // 00000000DAC0: DD348008 00088306
	global_atomic_add_f32 v6, v135, s[8:9] offset:264          // 00000000DAC8: DD348108 00088706
	s_mov_b64 exec, s[36:37]                                   // 00000000DAD0: BEFE0124
	v_mov_b32_e32 v6, v74                                      // 00000000DAD4: 7E0C034A
	s_mov_b64 s[60:61], 0                                      // 00000000DAD8: BEBC0180
	v_readlane_b32 s82, v3, 28                                 // 00000000DADC: D2890052 00013903
	s_and_b32 s82, s82, 0xffffff                               // 00000000DAE4: 8652FF52 00FFFFFF
	s_cmp_lt_u32 s82, s66                                      // 00000000DAEC: BF0A4252
	s_cselect_b32 s20, s36, s60                                // 00000000DAF0: 85143C24
	v_readlane_b32 s82, v3, 29                                 // 00000000DAF4: D2890052 00013B03
	s_and_b32 s82, s82, 0xffffff                               // 00000000DAFC: 8652FF52 00FFFFFF
	s_cmp_lt_u32 s82, s66                                      // 00000000DB04: BF0A4252
	s_cselect_b32 s21, s36, s60                                // 00000000DB08: 85153C24
	s_mov_b64 exec, s[20:21]                                   // 00000000DB0C: BEFE0114
	global_atomic_add_f32 v6, v138, s[8:9] offset:8            // 00000000DB10: DD348008 00088A06
	global_atomic_add_f32 v6, v142, s[8:9] offset:264          // 00000000DB18: DD348108 00088E06
	s_mov_b64 exec, s[36:37]                                   // 00000000DB20: BEFE0124
	v_mov_b32_e32 v6, v75                                      // 00000000DB24: 7E0C034B
	s_mov_b64 s[60:61], 0                                      // 00000000DB28: BEBC0180
	v_readlane_b32 s82, v3, 30                                 // 00000000DB2C: D2890052 00013D03
	s_and_b32 s82, s82, 0xffffff                               // 00000000DB34: 8652FF52 00FFFFFF
	s_cmp_lt_u32 s82, s66                                      // 00000000DB3C: BF0A4252
	s_cselect_b32 s20, s36, s60                                // 00000000DB40: 85143C24
	v_readlane_b32 s82, v3, 31                                 // 00000000DB44: D2890052 00013F03
	s_and_b32 s82, s82, 0xffffff                               // 00000000DB4C: 8652FF52 00FFFFFF
	s_cmp_lt_u32 s82, s66                                      // 00000000DB54: BF0A4252
	s_cselect_b32 s21, s36, s60                                // 00000000DB58: 85153C24
	s_mov_b64 exec, s[20:21]                                   // 00000000DB5C: BEFE0114
	global_atomic_add_f32 v6, v139, s[8:9] offset:8            // 00000000DB60: DD348008 00088B06
	global_atomic_add_f32 v6, v143, s[8:9] offset:264          // 00000000DB68: DD348108 00088F06
	s_mov_b64 exec, s[36:37]                                   // 00000000DB70: BEFE0124
	ds_write_b64 v20, v[144:145]                               // 00000000DB74: D89A0000 00009014
	ds_write_b64 v20, v[148:149] offset:4352                   // 00000000DB7C: D89A1100 00009414
	ds_write_b64 v20, v[152:153] offset:8704                   // 00000000DB84: D89A2200 00009814
	ds_write_b64 v20, v[156:157] offset:13056                  // 00000000DB8C: D89A3300 00009C14
	ds_write_b64 v20, v[160:161] offset:17408                  // 00000000DB94: D89A4400 0000A014
	ds_write_b64 v20, v[164:165] offset:21760                  // 00000000DB9C: D89A5500 0000A414
	ds_write_b64 v20, v[168:169] offset:26112                  // 00000000DBA4: D89A6600 0000A814
	ds_write_b64 v20, v[172:173] offset:30464                  // 00000000DBAC: D89A7700 0000AC14
	ds_write_b64 v20, v[176:177] offset:2176                   // 00000000DBB4: D89A0880 0000B014
	ds_write_b64 v20, v[180:181] offset:6528                   // 00000000DBBC: D89A1980 0000B414
	ds_write_b64 v20, v[184:185] offset:10880                  // 00000000DBC4: D89A2A80 0000B814
	ds_write_b64 v20, v[188:189] offset:15232                  // 00000000DBCC: D89A3B80 0000BC14
	ds_write_b64 v20, v[192:193] offset:19584                  // 00000000DBD4: D89A4C80 0000C014
	ds_write_b64 v20, v[196:197] offset:23936                  // 00000000DBDC: D89A5D80 0000C414
	ds_write_b64 v20, v[200:201] offset:28288                  // 00000000DBE4: D89A6E80 0000C814
	ds_write_b64 v20, v[204:205] offset:32640                  // 00000000DBEC: D89A7F80 0000CC14
	s_waitcnt lgkmcnt(0)                                       // 00000000DBF4: BF8CC07F
	s_barrier                                                  // 00000000DBF8: BF8A0000
	ds_read_b32 v144, v21                                      // 00000000DBFC: D86C0000 90000015
	ds_read_b32 v145, v21 offset:64                            // 00000000DC04: D86C0040 91000015
	ds_read_b32 v148, v21 offset:2176                          // 00000000DC0C: D86C0880 94000015
	ds_read_b32 v149, v21 offset:2240                          // 00000000DC14: D86C08C0 95000015
	ds_read_b32 v152, v21 offset:4352                          // 00000000DC1C: D86C1100 98000015
	ds_read_b32 v153, v21 offset:4416                          // 00000000DC24: D86C1140 99000015
	ds_read_b32 v156, v21 offset:6528                          // 00000000DC2C: D86C1980 9C000015
	ds_read_b32 v157, v21 offset:6592                          // 00000000DC34: D86C19C0 9D000015
	ds_read_b32 v160, v21 offset:8704                          // 00000000DC3C: D86C2200 A0000015
	ds_read_b32 v161, v21 offset:8768                          // 00000000DC44: D86C2240 A1000015
	ds_read_b32 v164, v21 offset:10880                         // 00000000DC4C: D86C2A80 A4000015
	ds_read_b32 v165, v21 offset:10944                         // 00000000DC54: D86C2AC0 A5000015
	ds_read_b32 v168, v21 offset:13056                         // 00000000DC5C: D86C3300 A8000015
	ds_read_b32 v169, v21 offset:13120                         // 00000000DC64: D86C3340 A9000015
	ds_read_b32 v172, v21 offset:15232                         // 00000000DC6C: D86C3B80 AC000015
	ds_read_b32 v173, v21 offset:15296                         // 00000000DC74: D86C3BC0 AD000015
	ds_read_b32 v176, v21 offset:17408                         // 00000000DC7C: D86C4400 B0000015
	ds_read_b32 v177, v21 offset:17472                         // 00000000DC84: D86C4440 B1000015
	ds_read_b32 v180, v21 offset:19584                         // 00000000DC8C: D86C4C80 B4000015
	ds_read_b32 v181, v21 offset:19648                         // 00000000DC94: D86C4CC0 B5000015
	ds_read_b32 v184, v21 offset:21760                         // 00000000DC9C: D86C5500 B8000015
	ds_read_b32 v185, v21 offset:21824                         // 00000000DCA4: D86C5540 B9000015
	ds_read_b32 v188, v21 offset:23936                         // 00000000DCAC: D86C5D80 BC000015
	ds_read_b32 v189, v21 offset:24000                         // 00000000DCB4: D86C5DC0 BD000015
	ds_read_b32 v192, v21 offset:26112                         // 00000000DCBC: D86C6600 C0000015
	ds_read_b32 v193, v21 offset:26176                         // 00000000DCC4: D86C6640 C1000015
	ds_read_b32 v196, v21 offset:28288                         // 00000000DCCC: D86C6E80 C4000015
	ds_read_b32 v197, v21 offset:28352                         // 00000000DCD4: D86C6EC0 C5000015
	ds_read_b32 v200, v21 offset:30464                         // 00000000DCDC: D86C7700 C8000015
	ds_read_b32 v201, v21 offset:30528                         // 00000000DCE4: D86C7740 C9000015
	ds_read_b32 v204, v21 offset:32640                         // 00000000DCEC: D86C7F80 CC000015
	ds_read_b32 v205, v21 offset:32704                         // 00000000DCF4: D86C7FC0 CD000015
	s_mul_i32 s60, s65, 4                                      // 00000000DCFC: 923C8441
	s_add_u32 s8, s60, s8                                      // 00000000DD00: 8008083C
	s_addc_u32 s9, 0, s9                                       // 00000000DD04: 82090980
	s_waitcnt lgkmcnt(0)                                       // 00000000DD08: BF8CC07F
	v_mov_b32_e32 v7, 0                                        // 00000000DD0C: 7E0E0280
	s_mov_b64 exec, s[36:37]                                   // 00000000DD10: BEFE0124
	v_mov_b32_e32 v6, v60                                      // 00000000DD14: 7E0C033C
	s_mov_b64 s[60:61], 0                                      // 00000000DD18: BEBC0180
	v_readlane_b32 s82, v3, 0                                  // 00000000DD1C: D2890052 00010103
	s_and_b32 s82, s82, 0xffffff                               // 00000000DD24: 8652FF52 00FFFFFF
	s_cmp_lt_u32 s82, s66                                      // 00000000DD2C: BF0A4252
	s_cselect_b32 s20, s36, s60                                // 00000000DD30: 85143C24
	v_readlane_b32 s82, v3, 1                                  // 00000000DD34: D2890052 00010303
	s_and_b32 s82, s82, 0xffffff                               // 00000000DD3C: 8652FF52 00FFFFFF
	s_cmp_lt_u32 s82, s66                                      // 00000000DD44: BF0A4252
	s_cselect_b32 s21, s36, s60                                // 00000000DD48: 85153C24
	s_mov_b64 exec, s[20:21]                                   // 00000000DD4C: BEFE0114
	global_atomic_add_f32 v6, v144, s[8:9]                     // 00000000DD50: DD348000 00089006
	global_atomic_add_f32 v6, v148, s[8:9] offset:256          // 00000000DD58: DD348100 00089406
	s_mov_b64 exec, s[36:37]                                   // 00000000DD60: BEFE0124
	v_mov_b32_e32 v6, v61                                      // 00000000DD64: 7E0C033D
	s_mov_b64 s[60:61], 0                                      // 00000000DD68: BEBC0180
	v_readlane_b32 s82, v3, 2                                  // 00000000DD6C: D2890052 00010503
	s_and_b32 s82, s82, 0xffffff                               // 00000000DD74: 8652FF52 00FFFFFF
	s_cmp_lt_u32 s82, s66                                      // 00000000DD7C: BF0A4252
	s_cselect_b32 s20, s36, s60                                // 00000000DD80: 85143C24
	v_readlane_b32 s82, v3, 3                                  // 00000000DD84: D2890052 00010703
	s_and_b32 s82, s82, 0xffffff                               // 00000000DD8C: 8652FF52 00FFFFFF
	s_cmp_lt_u32 s82, s66                                      // 00000000DD94: BF0A4252
	s_cselect_b32 s21, s36, s60                                // 00000000DD98: 85153C24
	s_mov_b64 exec, s[20:21]                                   // 00000000DD9C: BEFE0114
	global_atomic_add_f32 v6, v145, s[8:9]                     // 00000000DDA0: DD348000 00089106
	global_atomic_add_f32 v6, v149, s[8:9] offset:256          // 00000000DDA8: DD348100 00089506
	s_mov_b64 exec, s[36:37]                                   // 00000000DDB0: BEFE0124
	v_mov_b32_e32 v6, v62                                      // 00000000DDB4: 7E0C033E
	s_mov_b64 s[60:61], 0                                      // 00000000DDB8: BEBC0180
	v_readlane_b32 s82, v3, 4                                  // 00000000DDBC: D2890052 00010903
	s_and_b32 s82, s82, 0xffffff                               // 00000000DDC4: 8652FF52 00FFFFFF
	s_cmp_lt_u32 s82, s66                                      // 00000000DDCC: BF0A4252
	s_cselect_b32 s20, s36, s60                                // 00000000DDD0: 85143C24
	v_readlane_b32 s82, v3, 5                                  // 00000000DDD4: D2890052 00010B03
	s_and_b32 s82, s82, 0xffffff                               // 00000000DDDC: 8652FF52 00FFFFFF
	s_cmp_lt_u32 s82, s66                                      // 00000000DDE4: BF0A4252
	s_cselect_b32 s21, s36, s60                                // 00000000DDE8: 85153C24
	s_mov_b64 exec, s[20:21]                                   // 00000000DDEC: BEFE0114
	global_atomic_add_f32 v6, v152, s[8:9]                     // 00000000DDF0: DD348000 00089806
	global_atomic_add_f32 v6, v156, s[8:9] offset:256          // 00000000DDF8: DD348100 00089C06
	s_mov_b64 exec, s[36:37]                                   // 00000000DE00: BEFE0124
	v_mov_b32_e32 v6, v63                                      // 00000000DE04: 7E0C033F
	s_mov_b64 s[60:61], 0                                      // 00000000DE08: BEBC0180
	v_readlane_b32 s82, v3, 6                                  // 00000000DE0C: D2890052 00010D03
	s_and_b32 s82, s82, 0xffffff                               // 00000000DE14: 8652FF52 00FFFFFF
	s_cmp_lt_u32 s82, s66                                      // 00000000DE1C: BF0A4252
	s_cselect_b32 s20, s36, s60                                // 00000000DE20: 85143C24
	v_readlane_b32 s82, v3, 7                                  // 00000000DE24: D2890052 00010F03
	s_and_b32 s82, s82, 0xffffff                               // 00000000DE2C: 8652FF52 00FFFFFF
	s_cmp_lt_u32 s82, s66                                      // 00000000DE34: BF0A4252
	s_cselect_b32 s21, s36, s60                                // 00000000DE38: 85153C24
	s_mov_b64 exec, s[20:21]                                   // 00000000DE3C: BEFE0114
	global_atomic_add_f32 v6, v153, s[8:9]                     // 00000000DE40: DD348000 00089906
	global_atomic_add_f32 v6, v157, s[8:9] offset:256          // 00000000DE48: DD348100 00089D06
	s_mov_b64 exec, s[36:37]                                   // 00000000DE50: BEFE0124
	v_mov_b32_e32 v6, v64                                      // 00000000DE54: 7E0C0340
	s_mov_b64 s[60:61], 0                                      // 00000000DE58: BEBC0180
	v_readlane_b32 s82, v3, 8                                  // 00000000DE5C: D2890052 00011103
	s_and_b32 s82, s82, 0xffffff                               // 00000000DE64: 8652FF52 00FFFFFF
	s_cmp_lt_u32 s82, s66                                      // 00000000DE6C: BF0A4252
	s_cselect_b32 s20, s36, s60                                // 00000000DE70: 85143C24
	v_readlane_b32 s82, v3, 9                                  // 00000000DE74: D2890052 00011303
	s_and_b32 s82, s82, 0xffffff                               // 00000000DE7C: 8652FF52 00FFFFFF
	s_cmp_lt_u32 s82, s66                                      // 00000000DE84: BF0A4252
	s_cselect_b32 s21, s36, s60                                // 00000000DE88: 85153C24
	s_mov_b64 exec, s[20:21]                                   // 00000000DE8C: BEFE0114
	global_atomic_add_f32 v6, v160, s[8:9]                     // 00000000DE90: DD348000 0008A006
	global_atomic_add_f32 v6, v164, s[8:9] offset:256          // 00000000DE98: DD348100 0008A406
	s_mov_b64 exec, s[36:37]                                   // 00000000DEA0: BEFE0124
	v_mov_b32_e32 v6, v65                                      // 00000000DEA4: 7E0C0341
	s_mov_b64 s[60:61], 0                                      // 00000000DEA8: BEBC0180
	v_readlane_b32 s82, v3, 10                                 // 00000000DEAC: D2890052 00011503
	s_and_b32 s82, s82, 0xffffff                               // 00000000DEB4: 8652FF52 00FFFFFF
	s_cmp_lt_u32 s82, s66                                      // 00000000DEBC: BF0A4252
	s_cselect_b32 s20, s36, s60                                // 00000000DEC0: 85143C24
	v_readlane_b32 s82, v3, 11                                 // 00000000DEC4: D2890052 00011703
	s_and_b32 s82, s82, 0xffffff                               // 00000000DECC: 8652FF52 00FFFFFF
	s_cmp_lt_u32 s82, s66                                      // 00000000DED4: BF0A4252
	s_cselect_b32 s21, s36, s60                                // 00000000DED8: 85153C24
	s_mov_b64 exec, s[20:21]                                   // 00000000DEDC: BEFE0114
	global_atomic_add_f32 v6, v161, s[8:9]                     // 00000000DEE0: DD348000 0008A106
	global_atomic_add_f32 v6, v165, s[8:9] offset:256          // 00000000DEE8: DD348100 0008A506
	s_mov_b64 exec, s[36:37]                                   // 00000000DEF0: BEFE0124
	v_mov_b32_e32 v6, v66                                      // 00000000DEF4: 7E0C0342
	s_mov_b64 s[60:61], 0                                      // 00000000DEF8: BEBC0180
	v_readlane_b32 s82, v3, 12                                 // 00000000DEFC: D2890052 00011903
	s_and_b32 s82, s82, 0xffffff                               // 00000000DF04: 8652FF52 00FFFFFF
	s_cmp_lt_u32 s82, s66                                      // 00000000DF0C: BF0A4252
	s_cselect_b32 s20, s36, s60                                // 00000000DF10: 85143C24
	v_readlane_b32 s82, v3, 13                                 // 00000000DF14: D2890052 00011B03
	s_and_b32 s82, s82, 0xffffff                               // 00000000DF1C: 8652FF52 00FFFFFF
	s_cmp_lt_u32 s82, s66                                      // 00000000DF24: BF0A4252
	s_cselect_b32 s21, s36, s60                                // 00000000DF28: 85153C24
	s_mov_b64 exec, s[20:21]                                   // 00000000DF2C: BEFE0114
	global_atomic_add_f32 v6, v168, s[8:9]                     // 00000000DF30: DD348000 0008A806
	global_atomic_add_f32 v6, v172, s[8:9] offset:256          // 00000000DF38: DD348100 0008AC06
	s_mov_b64 exec, s[36:37]                                   // 00000000DF40: BEFE0124
	v_mov_b32_e32 v6, v67                                      // 00000000DF44: 7E0C0343
	s_mov_b64 s[60:61], 0                                      // 00000000DF48: BEBC0180
	v_readlane_b32 s82, v3, 14                                 // 00000000DF4C: D2890052 00011D03
	s_and_b32 s82, s82, 0xffffff                               // 00000000DF54: 8652FF52 00FFFFFF
	s_cmp_lt_u32 s82, s66                                      // 00000000DF5C: BF0A4252
	s_cselect_b32 s20, s36, s60                                // 00000000DF60: 85143C24
	v_readlane_b32 s82, v3, 15                                 // 00000000DF64: D2890052 00011F03
	s_and_b32 s82, s82, 0xffffff                               // 00000000DF6C: 8652FF52 00FFFFFF
	s_cmp_lt_u32 s82, s66                                      // 00000000DF74: BF0A4252
	s_cselect_b32 s21, s36, s60                                // 00000000DF78: 85153C24
	s_mov_b64 exec, s[20:21]                                   // 00000000DF7C: BEFE0114
	global_atomic_add_f32 v6, v169, s[8:9]                     // 00000000DF80: DD348000 0008A906
	global_atomic_add_f32 v6, v173, s[8:9] offset:256          // 00000000DF88: DD348100 0008AD06
	s_mov_b64 exec, s[36:37]                                   // 00000000DF90: BEFE0124
	v_mov_b32_e32 v6, v68                                      // 00000000DF94: 7E0C0344
	s_mov_b64 s[60:61], 0                                      // 00000000DF98: BEBC0180
	v_readlane_b32 s82, v3, 16                                 // 00000000DF9C: D2890052 00012103
	s_and_b32 s82, s82, 0xffffff                               // 00000000DFA4: 8652FF52 00FFFFFF
	s_cmp_lt_u32 s82, s66                                      // 00000000DFAC: BF0A4252
	s_cselect_b32 s20, s36, s60                                // 00000000DFB0: 85143C24
	v_readlane_b32 s82, v3, 17                                 // 00000000DFB4: D2890052 00012303
	s_and_b32 s82, s82, 0xffffff                               // 00000000DFBC: 8652FF52 00FFFFFF
	s_cmp_lt_u32 s82, s66                                      // 00000000DFC4: BF0A4252
	s_cselect_b32 s21, s36, s60                                // 00000000DFC8: 85153C24
	s_mov_b64 exec, s[20:21]                                   // 00000000DFCC: BEFE0114
	global_atomic_add_f32 v6, v176, s[8:9]                     // 00000000DFD0: DD348000 0008B006
	global_atomic_add_f32 v6, v180, s[8:9] offset:256          // 00000000DFD8: DD348100 0008B406
	s_mov_b64 exec, s[36:37]                                   // 00000000DFE0: BEFE0124
	v_mov_b32_e32 v6, v69                                      // 00000000DFE4: 7E0C0345
	s_mov_b64 s[60:61], 0                                      // 00000000DFE8: BEBC0180
	v_readlane_b32 s82, v3, 18                                 // 00000000DFEC: D2890052 00012503
	s_and_b32 s82, s82, 0xffffff                               // 00000000DFF4: 8652FF52 00FFFFFF
	s_cmp_lt_u32 s82, s66                                      // 00000000DFFC: BF0A4252
	s_cselect_b32 s20, s36, s60                                // 00000000E000: 85143C24
	v_readlane_b32 s82, v3, 19                                 // 00000000E004: D2890052 00012703
	s_and_b32 s82, s82, 0xffffff                               // 00000000E00C: 8652FF52 00FFFFFF
	s_cmp_lt_u32 s82, s66                                      // 00000000E014: BF0A4252
	s_cselect_b32 s21, s36, s60                                // 00000000E018: 85153C24
	s_mov_b64 exec, s[20:21]                                   // 00000000E01C: BEFE0114
	global_atomic_add_f32 v6, v177, s[8:9]                     // 00000000E020: DD348000 0008B106
	global_atomic_add_f32 v6, v181, s[8:9] offset:256          // 00000000E028: DD348100 0008B506
	s_mov_b64 exec, s[36:37]                                   // 00000000E030: BEFE0124
	v_mov_b32_e32 v6, v70                                      // 00000000E034: 7E0C0346
	s_mov_b64 s[60:61], 0                                      // 00000000E038: BEBC0180
	v_readlane_b32 s82, v3, 20                                 // 00000000E03C: D2890052 00012903
	s_and_b32 s82, s82, 0xffffff                               // 00000000E044: 8652FF52 00FFFFFF
	s_cmp_lt_u32 s82, s66                                      // 00000000E04C: BF0A4252
	s_cselect_b32 s20, s36, s60                                // 00000000E050: 85143C24
	v_readlane_b32 s82, v3, 21                                 // 00000000E054: D2890052 00012B03
	s_and_b32 s82, s82, 0xffffff                               // 00000000E05C: 8652FF52 00FFFFFF
	s_cmp_lt_u32 s82, s66                                      // 00000000E064: BF0A4252
	s_cselect_b32 s21, s36, s60                                // 00000000E068: 85153C24
	s_mov_b64 exec, s[20:21]                                   // 00000000E06C: BEFE0114
	global_atomic_add_f32 v6, v184, s[8:9]                     // 00000000E070: DD348000 0008B806
	global_atomic_add_f32 v6, v188, s[8:9] offset:256          // 00000000E078: DD348100 0008BC06
	s_mov_b64 exec, s[36:37]                                   // 00000000E080: BEFE0124
	v_mov_b32_e32 v6, v71                                      // 00000000E084: 7E0C0347
	s_mov_b64 s[60:61], 0                                      // 00000000E088: BEBC0180
	v_readlane_b32 s82, v3, 22                                 // 00000000E08C: D2890052 00012D03
	s_and_b32 s82, s82, 0xffffff                               // 00000000E094: 8652FF52 00FFFFFF
	s_cmp_lt_u32 s82, s66                                      // 00000000E09C: BF0A4252
	s_cselect_b32 s20, s36, s60                                // 00000000E0A0: 85143C24
	v_readlane_b32 s82, v3, 23                                 // 00000000E0A4: D2890052 00012F03
	s_and_b32 s82, s82, 0xffffff                               // 00000000E0AC: 8652FF52 00FFFFFF
	s_cmp_lt_u32 s82, s66                                      // 00000000E0B4: BF0A4252
	s_cselect_b32 s21, s36, s60                                // 00000000E0B8: 85153C24
	s_mov_b64 exec, s[20:21]                                   // 00000000E0BC: BEFE0114
	global_atomic_add_f32 v6, v185, s[8:9]                     // 00000000E0C0: DD348000 0008B906
	global_atomic_add_f32 v6, v189, s[8:9] offset:256          // 00000000E0C8: DD348100 0008BD06
	s_mov_b64 exec, s[36:37]                                   // 00000000E0D0: BEFE0124
	v_mov_b32_e32 v6, v72                                      // 00000000E0D4: 7E0C0348
	s_mov_b64 s[60:61], 0                                      // 00000000E0D8: BEBC0180
	v_readlane_b32 s82, v3, 24                                 // 00000000E0DC: D2890052 00013103
	s_and_b32 s82, s82, 0xffffff                               // 00000000E0E4: 8652FF52 00FFFFFF
	s_cmp_lt_u32 s82, s66                                      // 00000000E0EC: BF0A4252
	s_cselect_b32 s20, s36, s60                                // 00000000E0F0: 85143C24
	v_readlane_b32 s82, v3, 25                                 // 00000000E0F4: D2890052 00013303
	s_and_b32 s82, s82, 0xffffff                               // 00000000E0FC: 8652FF52 00FFFFFF
	s_cmp_lt_u32 s82, s66                                      // 00000000E104: BF0A4252
	s_cselect_b32 s21, s36, s60                                // 00000000E108: 85153C24
	s_mov_b64 exec, s[20:21]                                   // 00000000E10C: BEFE0114
	global_atomic_add_f32 v6, v192, s[8:9]                     // 00000000E110: DD348000 0008C006
	global_atomic_add_f32 v6, v196, s[8:9] offset:256          // 00000000E118: DD348100 0008C406
	s_mov_b64 exec, s[36:37]                                   // 00000000E120: BEFE0124
	v_mov_b32_e32 v6, v73                                      // 00000000E124: 7E0C0349
	s_mov_b64 s[60:61], 0                                      // 00000000E128: BEBC0180
	v_readlane_b32 s82, v3, 26                                 // 00000000E12C: D2890052 00013503
	s_and_b32 s82, s82, 0xffffff                               // 00000000E134: 8652FF52 00FFFFFF
	s_cmp_lt_u32 s82, s66                                      // 00000000E13C: BF0A4252
	s_cselect_b32 s20, s36, s60                                // 00000000E140: 85143C24
	v_readlane_b32 s82, v3, 27                                 // 00000000E144: D2890052 00013703
	s_and_b32 s82, s82, 0xffffff                               // 00000000E14C: 8652FF52 00FFFFFF
	s_cmp_lt_u32 s82, s66                                      // 00000000E154: BF0A4252
	s_cselect_b32 s21, s36, s60                                // 00000000E158: 85153C24
	s_mov_b64 exec, s[20:21]                                   // 00000000E15C: BEFE0114
	global_atomic_add_f32 v6, v193, s[8:9]                     // 00000000E160: DD348000 0008C106
	global_atomic_add_f32 v6, v197, s[8:9] offset:256          // 00000000E168: DD348100 0008C506
	s_mov_b64 exec, s[36:37]                                   // 00000000E170: BEFE0124
	v_mov_b32_e32 v6, v74                                      // 00000000E174: 7E0C034A
	s_mov_b64 s[60:61], 0                                      // 00000000E178: BEBC0180
	v_readlane_b32 s82, v3, 28                                 // 00000000E17C: D2890052 00013903
	s_and_b32 s82, s82, 0xffffff                               // 00000000E184: 8652FF52 00FFFFFF
	s_cmp_lt_u32 s82, s66                                      // 00000000E18C: BF0A4252
	s_cselect_b32 s20, s36, s60                                // 00000000E190: 85143C24
	v_readlane_b32 s82, v3, 29                                 // 00000000E194: D2890052 00013B03
	s_and_b32 s82, s82, 0xffffff                               // 00000000E19C: 8652FF52 00FFFFFF
	s_cmp_lt_u32 s82, s66                                      // 00000000E1A4: BF0A4252
	s_cselect_b32 s21, s36, s60                                // 00000000E1A8: 85153C24
	s_mov_b64 exec, s[20:21]                                   // 00000000E1AC: BEFE0114
	global_atomic_add_f32 v6, v200, s[8:9]                     // 00000000E1B0: DD348000 0008C806
	global_atomic_add_f32 v6, v204, s[8:9] offset:256          // 00000000E1B8: DD348100 0008CC06
	s_mov_b64 exec, s[36:37]                                   // 00000000E1C0: BEFE0124
	v_mov_b32_e32 v6, v75                                      // 00000000E1C4: 7E0C034B
	s_mov_b64 s[60:61], 0                                      // 00000000E1C8: BEBC0180
	v_readlane_b32 s82, v3, 30                                 // 00000000E1CC: D2890052 00013D03
	s_and_b32 s82, s82, 0xffffff                               // 00000000E1D4: 8652FF52 00FFFFFF
	s_cmp_lt_u32 s82, s66                                      // 00000000E1DC: BF0A4252
	s_cselect_b32 s20, s36, s60                                // 00000000E1E0: 85143C24
	v_readlane_b32 s82, v3, 31                                 // 00000000E1E4: D2890052 00013F03
	s_and_b32 s82, s82, 0xffffff                               // 00000000E1EC: 8652FF52 00FFFFFF
	s_cmp_lt_u32 s82, s66                                      // 00000000E1F4: BF0A4252
	s_cselect_b32 s21, s36, s60                                // 00000000E1F8: 85153C24
	s_mov_b64 exec, s[20:21]                                   // 00000000E1FC: BEFE0114
	global_atomic_add_f32 v6, v201, s[8:9]                     // 00000000E200: DD348000 0008C906
	global_atomic_add_f32 v6, v205, s[8:9] offset:256          // 00000000E208: DD348100 0008CD06
	s_mov_b64 exec, s[36:37]                                   // 00000000E210: BEFE0124
	ds_write_b64 v20, v[146:147]                               // 00000000E214: D89A0000 00009214
	ds_write_b64 v20, v[150:151] offset:4352                   // 00000000E21C: D89A1100 00009614
	ds_write_b64 v20, v[154:155] offset:8704                   // 00000000E224: D89A2200 00009A14
	ds_write_b64 v20, v[158:159] offset:13056                  // 00000000E22C: D89A3300 00009E14
	ds_write_b64 v20, v[162:163] offset:17408                  // 00000000E234: D89A4400 0000A214
	ds_write_b64 v20, v[166:167] offset:21760                  // 00000000E23C: D89A5500 0000A614
	ds_write_b64 v20, v[170:171] offset:26112                  // 00000000E244: D89A6600 0000AA14
	ds_write_b64 v20, v[174:175] offset:30464                  // 00000000E24C: D89A7700 0000AE14
	ds_write_b64 v20, v[178:179] offset:2176                   // 00000000E254: D89A0880 0000B214
	ds_write_b64 v20, v[182:183] offset:6528                   // 00000000E25C: D89A1980 0000B614
	ds_write_b64 v20, v[186:187] offset:10880                  // 00000000E264: D89A2A80 0000BA14
	ds_write_b64 v20, v[190:191] offset:15232                  // 00000000E26C: D89A3B80 0000BE14
	ds_write_b64 v20, v[194:195] offset:19584                  // 00000000E274: D89A4C80 0000C214
	ds_write_b64 v20, v[198:199] offset:23936                  // 00000000E27C: D89A5D80 0000C614
	ds_write_b64 v20, v[202:203] offset:28288                  // 00000000E284: D89A6E80 0000CA14
	ds_write_b64 v20, v[206:207] offset:32640                  // 00000000E28C: D89A7F80 0000CE14
	s_waitcnt lgkmcnt(0)                                       // 00000000E294: BF8CC07F
	s_barrier                                                  // 00000000E298: BF8A0000
	ds_read_b32 v146, v21                                      // 00000000E29C: D86C0000 92000015
	ds_read_b32 v147, v21 offset:64                            // 00000000E2A4: D86C0040 93000015
	ds_read_b32 v150, v21 offset:2176                          // 00000000E2AC: D86C0880 96000015
	ds_read_b32 v151, v21 offset:2240                          // 00000000E2B4: D86C08C0 97000015
	ds_read_b32 v154, v21 offset:4352                          // 00000000E2BC: D86C1100 9A000015
	ds_read_b32 v155, v21 offset:4416                          // 00000000E2C4: D86C1140 9B000015
	ds_read_b32 v158, v21 offset:6528                          // 00000000E2CC: D86C1980 9E000015
	ds_read_b32 v159, v21 offset:6592                          // 00000000E2D4: D86C19C0 9F000015
	ds_read_b32 v162, v21 offset:8704                          // 00000000E2DC: D86C2200 A2000015
	ds_read_b32 v163, v21 offset:8768                          // 00000000E2E4: D86C2240 A3000015
	ds_read_b32 v166, v21 offset:10880                         // 00000000E2EC: D86C2A80 A6000015
	ds_read_b32 v167, v21 offset:10944                         // 00000000E2F4: D86C2AC0 A7000015
	ds_read_b32 v170, v21 offset:13056                         // 00000000E2FC: D86C3300 AA000015
	ds_read_b32 v171, v21 offset:13120                         // 00000000E304: D86C3340 AB000015
	ds_read_b32 v174, v21 offset:15232                         // 00000000E30C: D86C3B80 AE000015
	ds_read_b32 v175, v21 offset:15296                         // 00000000E314: D86C3BC0 AF000015
	ds_read_b32 v178, v21 offset:17408                         // 00000000E31C: D86C4400 B2000015
	ds_read_b32 v179, v21 offset:17472                         // 00000000E324: D86C4440 B3000015
	ds_read_b32 v182, v21 offset:19584                         // 00000000E32C: D86C4C80 B6000015
	ds_read_b32 v183, v21 offset:19648                         // 00000000E334: D86C4CC0 B7000015
	ds_read_b32 v186, v21 offset:21760                         // 00000000E33C: D86C5500 BA000015
	ds_read_b32 v187, v21 offset:21824                         // 00000000E344: D86C5540 BB000015
	ds_read_b32 v190, v21 offset:23936                         // 00000000E34C: D86C5D80 BE000015
	ds_read_b32 v191, v21 offset:24000                         // 00000000E354: D86C5DC0 BF000015
	ds_read_b32 v194, v21 offset:26112                         // 00000000E35C: D86C6600 C2000015
	ds_read_b32 v195, v21 offset:26176                         // 00000000E364: D86C6640 C3000015
	ds_read_b32 v198, v21 offset:28288                         // 00000000E36C: D86C6E80 C6000015
	ds_read_b32 v199, v21 offset:28352                         // 00000000E374: D86C6EC0 C7000015
	ds_read_b32 v202, v21 offset:30464                         // 00000000E37C: D86C7700 CA000015
	ds_read_b32 v203, v21 offset:30528                         // 00000000E384: D86C7740 CB000015
	ds_read_b32 v206, v21 offset:32640                         // 00000000E38C: D86C7F80 CE000015
	ds_read_b32 v207, v21 offset:32704                         // 00000000E394: D86C7FC0 CF000015
	s_waitcnt lgkmcnt(0)                                       // 00000000E39C: BF8CC07F
	v_mov_b32_e32 v7, 0                                        // 00000000E3A0: 7E0E0280
	s_mov_b64 exec, s[36:37]                                   // 00000000E3A4: BEFE0124
	v_mov_b32_e32 v6, v60                                      // 00000000E3A8: 7E0C033C
	s_mov_b64 s[60:61], 0                                      // 00000000E3AC: BEBC0180
	v_readlane_b32 s82, v3, 0                                  // 00000000E3B0: D2890052 00010103
	s_and_b32 s82, s82, 0xffffff                               // 00000000E3B8: 8652FF52 00FFFFFF
	s_cmp_lt_u32 s82, s66                                      // 00000000E3C0: BF0A4252
	s_cselect_b32 s20, s36, s60                                // 00000000E3C4: 85143C24
	v_readlane_b32 s82, v3, 1                                  // 00000000E3C8: D2890052 00010303
	s_and_b32 s82, s82, 0xffffff                               // 00000000E3D0: 8652FF52 00FFFFFF
	s_cmp_lt_u32 s82, s66                                      // 00000000E3D8: BF0A4252
	s_cselect_b32 s21, s36, s60                                // 00000000E3DC: 85153C24
	s_mov_b64 exec, s[20:21]                                   // 00000000E3E0: BEFE0114
	global_atomic_add_f32 v6, v146, s[8:9] offset:8            // 00000000E3E4: DD348008 00089206
	global_atomic_add_f32 v6, v150, s[8:9] offset:264          // 00000000E3EC: DD348108 00089606
	s_mov_b64 exec, s[36:37]                                   // 00000000E3F4: BEFE0124
	v_mov_b32_e32 v6, v61                                      // 00000000E3F8: 7E0C033D
	s_mov_b64 s[60:61], 0                                      // 00000000E3FC: BEBC0180
	v_readlane_b32 s82, v3, 2                                  // 00000000E400: D2890052 00010503
	s_and_b32 s82, s82, 0xffffff                               // 00000000E408: 8652FF52 00FFFFFF
	s_cmp_lt_u32 s82, s66                                      // 00000000E410: BF0A4252
	s_cselect_b32 s20, s36, s60                                // 00000000E414: 85143C24
	v_readlane_b32 s82, v3, 3                                  // 00000000E418: D2890052 00010703
	s_and_b32 s82, s82, 0xffffff                               // 00000000E420: 8652FF52 00FFFFFF
	s_cmp_lt_u32 s82, s66                                      // 00000000E428: BF0A4252
	s_cselect_b32 s21, s36, s60                                // 00000000E42C: 85153C24
	s_mov_b64 exec, s[20:21]                                   // 00000000E430: BEFE0114
	global_atomic_add_f32 v6, v147, s[8:9] offset:8            // 00000000E434: DD348008 00089306
	global_atomic_add_f32 v6, v151, s[8:9] offset:264          // 00000000E43C: DD348108 00089706
	s_mov_b64 exec, s[36:37]                                   // 00000000E444: BEFE0124
	v_mov_b32_e32 v6, v62                                      // 00000000E448: 7E0C033E
	s_mov_b64 s[60:61], 0                                      // 00000000E44C: BEBC0180
	v_readlane_b32 s82, v3, 4                                  // 00000000E450: D2890052 00010903
	s_and_b32 s82, s82, 0xffffff                               // 00000000E458: 8652FF52 00FFFFFF
	s_cmp_lt_u32 s82, s66                                      // 00000000E460: BF0A4252
	s_cselect_b32 s20, s36, s60                                // 00000000E464: 85143C24
	v_readlane_b32 s82, v3, 5                                  // 00000000E468: D2890052 00010B03
	s_and_b32 s82, s82, 0xffffff                               // 00000000E470: 8652FF52 00FFFFFF
	s_cmp_lt_u32 s82, s66                                      // 00000000E478: BF0A4252
	s_cselect_b32 s21, s36, s60                                // 00000000E47C: 85153C24
	s_mov_b64 exec, s[20:21]                                   // 00000000E480: BEFE0114
	global_atomic_add_f32 v6, v154, s[8:9] offset:8            // 00000000E484: DD348008 00089A06
	global_atomic_add_f32 v6, v158, s[8:9] offset:264          // 00000000E48C: DD348108 00089E06
	s_mov_b64 exec, s[36:37]                                   // 00000000E494: BEFE0124
	v_mov_b32_e32 v6, v63                                      // 00000000E498: 7E0C033F
	s_mov_b64 s[60:61], 0                                      // 00000000E49C: BEBC0180
	v_readlane_b32 s82, v3, 6                                  // 00000000E4A0: D2890052 00010D03
	s_and_b32 s82, s82, 0xffffff                               // 00000000E4A8: 8652FF52 00FFFFFF
	s_cmp_lt_u32 s82, s66                                      // 00000000E4B0: BF0A4252
	s_cselect_b32 s20, s36, s60                                // 00000000E4B4: 85143C24
	v_readlane_b32 s82, v3, 7                                  // 00000000E4B8: D2890052 00010F03
	s_and_b32 s82, s82, 0xffffff                               // 00000000E4C0: 8652FF52 00FFFFFF
	s_cmp_lt_u32 s82, s66                                      // 00000000E4C8: BF0A4252
	s_cselect_b32 s21, s36, s60                                // 00000000E4CC: 85153C24
	s_mov_b64 exec, s[20:21]                                   // 00000000E4D0: BEFE0114
	global_atomic_add_f32 v6, v155, s[8:9] offset:8            // 00000000E4D4: DD348008 00089B06
	global_atomic_add_f32 v6, v159, s[8:9] offset:264          // 00000000E4DC: DD348108 00089F06
	s_mov_b64 exec, s[36:37]                                   // 00000000E4E4: BEFE0124
	v_mov_b32_e32 v6, v64                                      // 00000000E4E8: 7E0C0340
	s_mov_b64 s[60:61], 0                                      // 00000000E4EC: BEBC0180
	v_readlane_b32 s82, v3, 8                                  // 00000000E4F0: D2890052 00011103
	s_and_b32 s82, s82, 0xffffff                               // 00000000E4F8: 8652FF52 00FFFFFF
	s_cmp_lt_u32 s82, s66                                      // 00000000E500: BF0A4252
	s_cselect_b32 s20, s36, s60                                // 00000000E504: 85143C24
	v_readlane_b32 s82, v3, 9                                  // 00000000E508: D2890052 00011303
	s_and_b32 s82, s82, 0xffffff                               // 00000000E510: 8652FF52 00FFFFFF
	s_cmp_lt_u32 s82, s66                                      // 00000000E518: BF0A4252
	s_cselect_b32 s21, s36, s60                                // 00000000E51C: 85153C24
	s_mov_b64 exec, s[20:21]                                   // 00000000E520: BEFE0114
	global_atomic_add_f32 v6, v162, s[8:9] offset:8            // 00000000E524: DD348008 0008A206
	global_atomic_add_f32 v6, v166, s[8:9] offset:264          // 00000000E52C: DD348108 0008A606
	s_mov_b64 exec, s[36:37]                                   // 00000000E534: BEFE0124
	v_mov_b32_e32 v6, v65                                      // 00000000E538: 7E0C0341
	s_mov_b64 s[60:61], 0                                      // 00000000E53C: BEBC0180
	v_readlane_b32 s82, v3, 10                                 // 00000000E540: D2890052 00011503
	s_and_b32 s82, s82, 0xffffff                               // 00000000E548: 8652FF52 00FFFFFF
	s_cmp_lt_u32 s82, s66                                      // 00000000E550: BF0A4252
	s_cselect_b32 s20, s36, s60                                // 00000000E554: 85143C24
	v_readlane_b32 s82, v3, 11                                 // 00000000E558: D2890052 00011703
	s_and_b32 s82, s82, 0xffffff                               // 00000000E560: 8652FF52 00FFFFFF
	s_cmp_lt_u32 s82, s66                                      // 00000000E568: BF0A4252
	s_cselect_b32 s21, s36, s60                                // 00000000E56C: 85153C24
	s_mov_b64 exec, s[20:21]                                   // 00000000E570: BEFE0114
	global_atomic_add_f32 v6, v163, s[8:9] offset:8            // 00000000E574: DD348008 0008A306
	global_atomic_add_f32 v6, v167, s[8:9] offset:264          // 00000000E57C: DD348108 0008A706
	s_mov_b64 exec, s[36:37]                                   // 00000000E584: BEFE0124
	v_mov_b32_e32 v6, v66                                      // 00000000E588: 7E0C0342
	s_mov_b64 s[60:61], 0                                      // 00000000E58C: BEBC0180
	v_readlane_b32 s82, v3, 12                                 // 00000000E590: D2890052 00011903
	s_and_b32 s82, s82, 0xffffff                               // 00000000E598: 8652FF52 00FFFFFF
	s_cmp_lt_u32 s82, s66                                      // 00000000E5A0: BF0A4252
	s_cselect_b32 s20, s36, s60                                // 00000000E5A4: 85143C24
	v_readlane_b32 s82, v3, 13                                 // 00000000E5A8: D2890052 00011B03
	s_and_b32 s82, s82, 0xffffff                               // 00000000E5B0: 8652FF52 00FFFFFF
	s_cmp_lt_u32 s82, s66                                      // 00000000E5B8: BF0A4252
	s_cselect_b32 s21, s36, s60                                // 00000000E5BC: 85153C24
	s_mov_b64 exec, s[20:21]                                   // 00000000E5C0: BEFE0114
	global_atomic_add_f32 v6, v170, s[8:9] offset:8            // 00000000E5C4: DD348008 0008AA06
	global_atomic_add_f32 v6, v174, s[8:9] offset:264          // 00000000E5CC: DD348108 0008AE06
	s_mov_b64 exec, s[36:37]                                   // 00000000E5D4: BEFE0124
	v_mov_b32_e32 v6, v67                                      // 00000000E5D8: 7E0C0343
	s_mov_b64 s[60:61], 0                                      // 00000000E5DC: BEBC0180
	v_readlane_b32 s82, v3, 14                                 // 00000000E5E0: D2890052 00011D03
	s_and_b32 s82, s82, 0xffffff                               // 00000000E5E8: 8652FF52 00FFFFFF
	s_cmp_lt_u32 s82, s66                                      // 00000000E5F0: BF0A4252
	s_cselect_b32 s20, s36, s60                                // 00000000E5F4: 85143C24
	v_readlane_b32 s82, v3, 15                                 // 00000000E5F8: D2890052 00011F03
	s_and_b32 s82, s82, 0xffffff                               // 00000000E600: 8652FF52 00FFFFFF
	s_cmp_lt_u32 s82, s66                                      // 00000000E608: BF0A4252
	s_cselect_b32 s21, s36, s60                                // 00000000E60C: 85153C24
	s_mov_b64 exec, s[20:21]                                   // 00000000E610: BEFE0114
	global_atomic_add_f32 v6, v171, s[8:9] offset:8            // 00000000E614: DD348008 0008AB06
	global_atomic_add_f32 v6, v175, s[8:9] offset:264          // 00000000E61C: DD348108 0008AF06
	s_mov_b64 exec, s[36:37]                                   // 00000000E624: BEFE0124
	v_mov_b32_e32 v6, v68                                      // 00000000E628: 7E0C0344
	s_mov_b64 s[60:61], 0                                      // 00000000E62C: BEBC0180
	v_readlane_b32 s82, v3, 16                                 // 00000000E630: D2890052 00012103
	s_and_b32 s82, s82, 0xffffff                               // 00000000E638: 8652FF52 00FFFFFF
	s_cmp_lt_u32 s82, s66                                      // 00000000E640: BF0A4252
	s_cselect_b32 s20, s36, s60                                // 00000000E644: 85143C24
	v_readlane_b32 s82, v3, 17                                 // 00000000E648: D2890052 00012303
	s_and_b32 s82, s82, 0xffffff                               // 00000000E650: 8652FF52 00FFFFFF
	s_cmp_lt_u32 s82, s66                                      // 00000000E658: BF0A4252
	s_cselect_b32 s21, s36, s60                                // 00000000E65C: 85153C24
	s_mov_b64 exec, s[20:21]                                   // 00000000E660: BEFE0114
	global_atomic_add_f32 v6, v178, s[8:9] offset:8            // 00000000E664: DD348008 0008B206
	global_atomic_add_f32 v6, v182, s[8:9] offset:264          // 00000000E66C: DD348108 0008B606
	s_mov_b64 exec, s[36:37]                                   // 00000000E674: BEFE0124
	v_mov_b32_e32 v6, v69                                      // 00000000E678: 7E0C0345
	s_mov_b64 s[60:61], 0                                      // 00000000E67C: BEBC0180
	v_readlane_b32 s82, v3, 18                                 // 00000000E680: D2890052 00012503
	s_and_b32 s82, s82, 0xffffff                               // 00000000E688: 8652FF52 00FFFFFF
	s_cmp_lt_u32 s82, s66                                      // 00000000E690: BF0A4252
	s_cselect_b32 s20, s36, s60                                // 00000000E694: 85143C24
	v_readlane_b32 s82, v3, 19                                 // 00000000E698: D2890052 00012703
	s_and_b32 s82, s82, 0xffffff                               // 00000000E6A0: 8652FF52 00FFFFFF
	s_cmp_lt_u32 s82, s66                                      // 00000000E6A8: BF0A4252
	s_cselect_b32 s21, s36, s60                                // 00000000E6AC: 85153C24
	s_mov_b64 exec, s[20:21]                                   // 00000000E6B0: BEFE0114
	global_atomic_add_f32 v6, v179, s[8:9] offset:8            // 00000000E6B4: DD348008 0008B306
	global_atomic_add_f32 v6, v183, s[8:9] offset:264          // 00000000E6BC: DD348108 0008B706
	s_mov_b64 exec, s[36:37]                                   // 00000000E6C4: BEFE0124
	v_mov_b32_e32 v6, v70                                      // 00000000E6C8: 7E0C0346
	s_mov_b64 s[60:61], 0                                      // 00000000E6CC: BEBC0180
	v_readlane_b32 s82, v3, 20                                 // 00000000E6D0: D2890052 00012903
	s_and_b32 s82, s82, 0xffffff                               // 00000000E6D8: 8652FF52 00FFFFFF
	s_cmp_lt_u32 s82, s66                                      // 00000000E6E0: BF0A4252
	s_cselect_b32 s20, s36, s60                                // 00000000E6E4: 85143C24
	v_readlane_b32 s82, v3, 21                                 // 00000000E6E8: D2890052 00012B03
	s_and_b32 s82, s82, 0xffffff                               // 00000000E6F0: 8652FF52 00FFFFFF
	s_cmp_lt_u32 s82, s66                                      // 00000000E6F8: BF0A4252
	s_cselect_b32 s21, s36, s60                                // 00000000E6FC: 85153C24
	s_mov_b64 exec, s[20:21]                                   // 00000000E700: BEFE0114
	global_atomic_add_f32 v6, v186, s[8:9] offset:8            // 00000000E704: DD348008 0008BA06
	global_atomic_add_f32 v6, v190, s[8:9] offset:264          // 00000000E70C: DD348108 0008BE06
	s_mov_b64 exec, s[36:37]                                   // 00000000E714: BEFE0124
	v_mov_b32_e32 v6, v71                                      // 00000000E718: 7E0C0347
	s_mov_b64 s[60:61], 0                                      // 00000000E71C: BEBC0180
	v_readlane_b32 s82, v3, 22                                 // 00000000E720: D2890052 00012D03
	s_and_b32 s82, s82, 0xffffff                               // 00000000E728: 8652FF52 00FFFFFF
	s_cmp_lt_u32 s82, s66                                      // 00000000E730: BF0A4252
	s_cselect_b32 s20, s36, s60                                // 00000000E734: 85143C24
	v_readlane_b32 s82, v3, 23                                 // 00000000E738: D2890052 00012F03
	s_and_b32 s82, s82, 0xffffff                               // 00000000E740: 8652FF52 00FFFFFF
	s_cmp_lt_u32 s82, s66                                      // 00000000E748: BF0A4252
	s_cselect_b32 s21, s36, s60                                // 00000000E74C: 85153C24
	s_mov_b64 exec, s[20:21]                                   // 00000000E750: BEFE0114
	global_atomic_add_f32 v6, v187, s[8:9] offset:8            // 00000000E754: DD348008 0008BB06
	global_atomic_add_f32 v6, v191, s[8:9] offset:264          // 00000000E75C: DD348108 0008BF06
	s_mov_b64 exec, s[36:37]                                   // 00000000E764: BEFE0124
	v_mov_b32_e32 v6, v72                                      // 00000000E768: 7E0C0348
	s_mov_b64 s[60:61], 0                                      // 00000000E76C: BEBC0180
	v_readlane_b32 s82, v3, 24                                 // 00000000E770: D2890052 00013103
	s_and_b32 s82, s82, 0xffffff                               // 00000000E778: 8652FF52 00FFFFFF
	s_cmp_lt_u32 s82, s66                                      // 00000000E780: BF0A4252
	s_cselect_b32 s20, s36, s60                                // 00000000E784: 85143C24
	v_readlane_b32 s82, v3, 25                                 // 00000000E788: D2890052 00013303
	s_and_b32 s82, s82, 0xffffff                               // 00000000E790: 8652FF52 00FFFFFF
	s_cmp_lt_u32 s82, s66                                      // 00000000E798: BF0A4252
	s_cselect_b32 s21, s36, s60                                // 00000000E79C: 85153C24
	s_mov_b64 exec, s[20:21]                                   // 00000000E7A0: BEFE0114
	global_atomic_add_f32 v6, v194, s[8:9] offset:8            // 00000000E7A4: DD348008 0008C206
	global_atomic_add_f32 v6, v198, s[8:9] offset:264          // 00000000E7AC: DD348108 0008C606
	s_mov_b64 exec, s[36:37]                                   // 00000000E7B4: BEFE0124
	v_mov_b32_e32 v6, v73                                      // 00000000E7B8: 7E0C0349
	s_mov_b64 s[60:61], 0                                      // 00000000E7BC: BEBC0180
	v_readlane_b32 s82, v3, 26                                 // 00000000E7C0: D2890052 00013503
	s_and_b32 s82, s82, 0xffffff                               // 00000000E7C8: 8652FF52 00FFFFFF
	s_cmp_lt_u32 s82, s66                                      // 00000000E7D0: BF0A4252
	s_cselect_b32 s20, s36, s60                                // 00000000E7D4: 85143C24
	v_readlane_b32 s82, v3, 27                                 // 00000000E7D8: D2890052 00013703
	s_and_b32 s82, s82, 0xffffff                               // 00000000E7E0: 8652FF52 00FFFFFF
	s_cmp_lt_u32 s82, s66                                      // 00000000E7E8: BF0A4252
	s_cselect_b32 s21, s36, s60                                // 00000000E7EC: 85153C24
	s_mov_b64 exec, s[20:21]                                   // 00000000E7F0: BEFE0114
	global_atomic_add_f32 v6, v195, s[8:9] offset:8            // 00000000E7F4: DD348008 0008C306
	global_atomic_add_f32 v6, v199, s[8:9] offset:264          // 00000000E7FC: DD348108 0008C706
	s_mov_b64 exec, s[36:37]                                   // 00000000E804: BEFE0124
	v_mov_b32_e32 v6, v74                                      // 00000000E808: 7E0C034A
	s_mov_b64 s[60:61], 0                                      // 00000000E80C: BEBC0180
	v_readlane_b32 s82, v3, 28                                 // 00000000E810: D2890052 00013903
	s_and_b32 s82, s82, 0xffffff                               // 00000000E818: 8652FF52 00FFFFFF
	s_cmp_lt_u32 s82, s66                                      // 00000000E820: BF0A4252
	s_cselect_b32 s20, s36, s60                                // 00000000E824: 85143C24
	v_readlane_b32 s82, v3, 29                                 // 00000000E828: D2890052 00013B03
	s_and_b32 s82, s82, 0xffffff                               // 00000000E830: 8652FF52 00FFFFFF
	s_cmp_lt_u32 s82, s66                                      // 00000000E838: BF0A4252
	s_cselect_b32 s21, s36, s60                                // 00000000E83C: 85153C24
	s_mov_b64 exec, s[20:21]                                   // 00000000E840: BEFE0114
	global_atomic_add_f32 v6, v202, s[8:9] offset:8            // 00000000E844: DD348008 0008CA06
	global_atomic_add_f32 v6, v206, s[8:9] offset:264          // 00000000E84C: DD348108 0008CE06
	s_mov_b64 exec, s[36:37]                                   // 00000000E854: BEFE0124
	v_mov_b32_e32 v6, v75                                      // 00000000E858: 7E0C034B
	s_mov_b64 s[60:61], 0                                      // 00000000E85C: BEBC0180
	v_readlane_b32 s82, v3, 30                                 // 00000000E860: D2890052 00013D03
	s_and_b32 s82, s82, 0xffffff                               // 00000000E868: 8652FF52 00FFFFFF
	s_cmp_lt_u32 s82, s66                                      // 00000000E870: BF0A4252
	s_cselect_b32 s20, s36, s60                                // 00000000E874: 85143C24
	v_readlane_b32 s82, v3, 31                                 // 00000000E878: D2890052 00013F03
	s_and_b32 s82, s82, 0xffffff                               // 00000000E880: 8652FF52 00FFFFFF
	s_cmp_lt_u32 s82, s66                                      // 00000000E888: BF0A4252
	s_cselect_b32 s21, s36, s60                                // 00000000E88C: 85153C24
	s_mov_b64 exec, s[20:21]                                   // 00000000E890: BEFE0114
	global_atomic_add_f32 v6, v203, s[8:9] offset:8            // 00000000E894: DD348008 0008CB06
	global_atomic_add_f32 v6, v207, s[8:9] offset:264          // 00000000E89C: DD348108 0008CF06
	s_mov_b64 exec, s[36:37]                                   // 00000000E8A4: BEFE0124
	s_branch label_2FAE                                        // 00000000E8A8: BF820000

000000000000e8ac <label_2FAE>:
	s_waitcnt vmcnt(0) expcnt(0) lgkmcnt(0)                    // 00000000E8AC: BF8C0000
	s_endpgm                                                   // 00000000E8B0: BF810000
